;; amdgpu-corpus repo=ROCm/hip-tests kind=compiled arch=gfx1100 opt=O3
	.text
	.amdgcn_target "amdgcn-amd-amdhsa--gfx1100"
	.amdhsa_code_object_version 6
	.section	.text._ZL25kernel_cg_grid_group_typePiS_S_S_P4dim3,"axG",@progbits,_ZL25kernel_cg_grid_group_typePiS_S_S_P4dim3,comdat
	.globl	_ZL25kernel_cg_grid_group_typePiS_S_S_P4dim3 ; -- Begin function _ZL25kernel_cg_grid_group_typePiS_S_S_P4dim3
	.p2align	8
	.type	_ZL25kernel_cg_grid_group_typePiS_S_S_P4dim3,@function
_ZL25kernel_cg_grid_group_typePiS_S_S_P4dim3: ; @_ZL25kernel_cg_grid_group_typePiS_S_S_P4dim3
; %bb.0:
	s_clause 0x1
	s_load_b32 s2, s[0:1], 0x38
	s_load_b128 s[16:19], s[0:1], 0x28
	s_add_u32 s3, s0, 40
	s_addc_u32 s4, s1, 0
	v_dual_mov_b32 v1, 0 :: v_dual_and_b32 v4, 0x3ff, v0
	s_waitcnt lgkmcnt(0)
	s_and_b32 s12, s2, 0xffff
	s_lshr_b32 s20, s19, 16
	s_cmp_lt_u32 s13, s16
	s_cselect_b32 s2, 12, 18
	s_delay_alu instid0(SALU_CYCLE_1)
	s_add_u32 s2, s3, s2
	s_addc_u32 s3, s4, 0
	s_load_b256 s[4:11], s[0:1], 0x0
	global_load_u16 v12, v1, s[2:3]
	s_mul_i32 s2, s17, s15
	s_and_b32 s15, s19, 0xffff
	s_add_i32 s2, s2, s14
	v_mad_u64_u32 v[1:2], null, s13, s15, v[4:5]
	v_bfe_u32 v5, v0, 20, 10
	s_mul_i32 s2, s2, s16
	v_bfe_u32 v0, v0, 10, 10
	s_add_i32 s2, s2, s13
	s_delay_alu instid0(VALU_DEP_2) | instid1(SALU_CYCLE_1)
	v_mad_u64_u32 v[6:7], null, s2, s12, v[5:6]
	s_delay_alu instid0(VALU_DEP_4) | instskip(SKIP_1) | instid1(SALU_CYCLE_1)
	v_ashrrev_i32_e32 v2, 31, v1
	s_mul_i32 s2, s18, s12
	s_mul_i32 s2, s2, s17
	s_delay_alu instid0(VALU_DEP_1) | instskip(NEXT) | instid1(VALU_DEP_3)
	v_lshlrev_b64 v[2:3], 2, v[1:2]
	v_mad_u64_u32 v[7:8], null, v6, s20, v[0:1]
	s_mul_i32 s2, s2, s20
	s_delay_alu instid0(SALU_CYCLE_1) | instskip(SKIP_1) | instid1(VALU_DEP_2)
	s_mul_i32 s2, s2, s16
	s_waitcnt lgkmcnt(0)
	v_add_co_u32 v8, vcc_lo, s4, v2
	v_add_co_ci_u32_e32 v9, vcc_lo, s5, v3, vcc_lo
	v_add_co_u32 v6, vcc_lo, s6, v2
	s_waitcnt vmcnt(0)
	v_mul_lo_u32 v13, s2, v12
	v_mad_u64_u32 v[10:11], null, v7, v12, v[4:5]
	v_add_co_ci_u32_e32 v7, vcc_lo, s7, v3, vcc_lo
	global_store_b32 v[8:9], v13, off
	global_store_b32 v[6:7], v10, off
	s_load_b64 s[2:3], s[0:1], 0x80
	v_or_b32_e32 v6, s13, v4
	v_add_co_u32 v8, vcc_lo, s8, v2
	v_add_co_ci_u32_e32 v9, vcc_lo, s9, v3, vcc_lo
	s_delay_alu instid0(VALU_DEP_3)
	v_cmp_ne_u32_e32 vcc_lo, 0, v6
	s_waitcnt lgkmcnt(0)
	s_cmp_lg_u64 s[2:3], 0
	s_cselect_b32 s4, -1, 0
	s_getpc_b64 s[6:7]
	s_add_u32 s6, s6, _ZL2gm.0@rel32@lo+4
	s_addc_u32 s7, s7, _ZL2gm.0@rel32@hi+12
	v_cndmask_b32_e64 v10, 0, 1, s4
	v_cmp_eq_u32_e64 s4, 0, v6
	v_dual_mov_b32 v6, s6 :: v_dual_mov_b32 v7, s7
	global_store_b32 v[8:9], v10, off
	s_and_saveexec_b32 s5, vcc_lo
; %bb.1:
	v_cmp_eq_u32_e32 vcc_lo, 0, v4
	s_cmp_eq_u32 s13, 1
	s_cselect_b32 s8, -1, 0
	s_getpc_b64 s[6:7]
	s_add_u32 s6, s6, _ZL2gm.1@rel32@lo+4
	s_addc_u32 s7, s7, _ZL2gm.1@rel32@hi+12
	s_and_b32 s8, s8, vcc_lo
	v_dual_mov_b32 v6, s6 :: v_dual_mov_b32 v7, s7
	s_and_not1_b32 s4, s4, exec_lo
	s_and_b32 s6, s8, exec_lo
	s_delay_alu instid0(SALU_CYCLE_1)
	s_or_b32 s4, s4, s6
; %bb.2:
	s_or_b32 exec_lo, exec_lo, s5
	s_load_b64 s[0:1], s[0:1], 0x20
	s_and_saveexec_b32 s5, s4
	s_cbranch_execz .LBB0_4
; %bb.3:
	v_mov_b32_e32 v8, 1
	global_store_b8 v[6:7], v8, off
.LBB0_4:
	s_or_b32 exec_lo, exec_lo, s5
	v_or3_b32 v0, v4, v0, v5
	s_mov_b32 s4, exec_lo
	s_waitcnt lgkmcnt(0)
	s_waitcnt_vscnt null, 0x0
	buffer_gl1_inv
	buffer_gl0_inv
	s_barrier
	v_cmpx_eq_u32_e32 0, v0
	s_cbranch_execz .LBB0_14
; %bb.5:
	v_mov_b32_e32 v5, 0
	s_mov_b32 s5, exec_lo
	s_mov_b32 s6, exec_lo
	v_mbcnt_lo_u32_b32 v4, s5, 0
                                        ; implicit-def: $vgpr6
	global_load_b32 v0, v5, s[2:3] offset:40
	v_cmpx_eq_u32_e32 0, v4
	s_cbranch_execz .LBB0_7
; %bb.6:
	s_bcnt1_i32_b32 s5, s5
	s_delay_alu instid0(SALU_CYCLE_1)
	v_mov_b32_e32 v6, s5
	global_atomic_add_u32 v6, v5, v6, s[2:3] offset:32 glc
.LBB0_7:
	s_or_b32 exec_lo, exec_lo, s6
	s_waitcnt vmcnt(0)
	v_readfirstlane_b32 s5, v6
	v_add_nc_u32_e32 v6, -1, v0
	s_delay_alu instid0(VALU_DEP_2) | instskip(SKIP_1) | instid1(VALU_DEP_1)
	v_add_nc_u32_e32 v4, s5, v4
	s_mov_b32 s5, exec_lo
	v_and_b32_e32 v5, 0xffff, v4
	s_delay_alu instid0(VALU_DEP_1)
	v_cmpx_ne_u32_e64 v5, v6
	s_xor_b32 s5, exec_lo, s5
	s_cbranch_execz .LBB0_11
; %bb.8:
	v_mov_b32_e32 v0, 0
	s_mov_b32 s6, 0
.LBB0_9:                                ; =>This Inner Loop Header: Depth=1
	s_sleep 1
	global_load_b32 v5, v0, s[2:3] offset:32 glc
	s_waitcnt vmcnt(0)
	v_xor_b32_e32 v5, v5, v4
	s_delay_alu instid0(VALU_DEP_1) | instskip(SKIP_1) | instid1(SALU_CYCLE_1)
	v_cmp_lt_u32_e32 vcc_lo, 0xffff, v5
	s_or_b32 s6, vcc_lo, s6
	s_and_not1_b32 exec_lo, exec_lo, s6
	s_cbranch_execnz .LBB0_9
; %bb.10:
	s_or_b32 exec_lo, exec_lo, s6
                                        ; implicit-def: $vgpr0
.LBB0_11:
	s_and_not1_saveexec_b32 s5, s5
	s_cbranch_execz .LBB0_14
; %bb.12:
	s_mov_b32 s5, exec_lo
	s_delay_alu instid0(SALU_CYCLE_1) | instskip(NEXT) | instid1(VALU_DEP_1)
	v_mbcnt_lo_u32_b32 v4, s5, 0
	v_cmp_eq_u32_e32 vcc_lo, 0, v4
	s_and_b32 s6, exec_lo, vcc_lo
	s_delay_alu instid0(SALU_CYCLE_1)
	s_mov_b32 exec_lo, s6
	s_cbranch_execz .LBB0_14
; %bb.13:
	v_sub_nc_u32_e32 v0, 0x10000, v0
	s_bcnt1_i32_b32 s5, s5
	v_mov_b32_e32 v4, 0
	s_delay_alu instid0(VALU_DEP_2)
	v_mul_lo_u32 v0, v0, s5
	global_atomic_add_u32 v4, v0, s[2:3] offset:32
.LBB0_14:
	s_or_b32 exec_lo, exec_lo, s4
	v_mov_b32_e32 v0, 0
	s_getpc_b64 s[2:3]
	s_add_u32 s2, s2, _ZL2gm.1@rel32@lo+4
	s_addc_u32 s3, s3, _ZL2gm.1@rel32@hi+12
	s_getpc_b64 s[4:5]
	s_add_u32 s4, s4, _ZL2gm.0@rel32@lo+4
	s_addc_u32 s5, s5, _ZL2gm.0@rel32@hi+12
	s_waitcnt_vscnt null, 0x0
	s_barrier
	s_clause 0x1
	global_load_u8 v4, v0, s[2:3]
	global_load_u8 v0, v0, s[4:5]
	s_waitcnt vmcnt(1)
	v_and_b32_e32 v4, 1, v4
	s_waitcnt vmcnt(0)
	v_and_b32_e32 v0, 1, v0
	s_delay_alu instid0(VALU_DEP_2) | instskip(SKIP_1) | instid1(VALU_DEP_3)
	v_cmp_eq_u32_e32 vcc_lo, 1, v4
	v_cndmask_b32_e64 v6, 0, 20, vcc_lo
	v_cmp_eq_u32_e32 vcc_lo, 1, v0
	v_cndmask_b32_e64 v0, 0, 10, vcc_lo
	v_add_co_u32 v4, vcc_lo, s10, v2
	v_add_co_ci_u32_e32 v5, vcc_lo, s11, v3, vcc_lo
	s_delay_alu instid0(VALU_DEP_3)
	v_mul_lo_u32 v3, v0, v6
	v_mad_i64_i32 v[6:7], null, v1, 12, s[0:1]
	v_dual_mov_b32 v1, s20 :: v_dual_mov_b32 v0, s15
	v_mov_b32_e32 v2, s12
	global_store_b32 v[4:5], v3, off
	global_store_b96 v[6:7], v[0:2], off
	s_nop 0
	s_sendmsg sendmsg(MSG_DEALLOC_VGPRS)
	s_endpgm
	.section	.rodata,"a",@progbits
	.p2align	6, 0x0
	.amdhsa_kernel _ZL25kernel_cg_grid_group_typePiS_S_S_P4dim3
		.amdhsa_group_segment_fixed_size 0
		.amdhsa_private_segment_fixed_size 0
		.amdhsa_kernarg_size 296
		.amdhsa_user_sgpr_count 13
		.amdhsa_user_sgpr_dispatch_ptr 0
		.amdhsa_user_sgpr_queue_ptr 0
		.amdhsa_user_sgpr_kernarg_segment_ptr 1
		.amdhsa_user_sgpr_dispatch_id 0
		.amdhsa_user_sgpr_private_segment_size 0
		.amdhsa_wavefront_size32 1
		.amdhsa_uses_dynamic_stack 0
		.amdhsa_enable_private_segment 0
		.amdhsa_system_sgpr_workgroup_id_x 1
		.amdhsa_system_sgpr_workgroup_id_y 1
		.amdhsa_system_sgpr_workgroup_id_z 1
		.amdhsa_system_sgpr_workgroup_info 0
		.amdhsa_system_vgpr_workitem_id 2
		.amdhsa_next_free_vgpr 14
		.amdhsa_next_free_sgpr 21
		.amdhsa_reserve_vcc 1
		.amdhsa_float_round_mode_32 0
		.amdhsa_float_round_mode_16_64 0
		.amdhsa_float_denorm_mode_32 3
		.amdhsa_float_denorm_mode_16_64 3
		.amdhsa_dx10_clamp 1
		.amdhsa_ieee_mode 1
		.amdhsa_fp16_overflow 0
		.amdhsa_workgroup_processor_mode 1
		.amdhsa_memory_ordered 1
		.amdhsa_forward_progress 0
		.amdhsa_shared_vgpr_count 0
		.amdhsa_exception_fp_ieee_invalid_op 0
		.amdhsa_exception_fp_denorm_src 0
		.amdhsa_exception_fp_ieee_div_zero 0
		.amdhsa_exception_fp_ieee_overflow 0
		.amdhsa_exception_fp_ieee_underflow 0
		.amdhsa_exception_fp_ieee_inexact 0
		.amdhsa_exception_int_div_zero 0
	.end_amdhsa_kernel
	.section	.text._ZL25kernel_cg_grid_group_typePiS_S_S_P4dim3,"axG",@progbits,_ZL25kernel_cg_grid_group_typePiS_S_S_P4dim3,comdat
.Lfunc_end0:
	.size	_ZL25kernel_cg_grid_group_typePiS_S_S_P4dim3, .Lfunc_end0-_ZL25kernel_cg_grid_group_typePiS_S_S_P4dim3
                                        ; -- End function
	.section	.AMDGPU.csdata,"",@progbits
; Kernel info:
; codeLenInByte = 948
; NumSgprs: 23
; NumVgprs: 14
; ScratchSize: 0
; MemoryBound: 0
; FloatMode: 240
; IeeeMode: 1
; LDSByteSize: 0 bytes/workgroup (compile time only)
; SGPRBlocks: 2
; VGPRBlocks: 1
; NumSGPRsForWavesPerEU: 23
; NumVGPRsForWavesPerEU: 14
; Occupancy: 16
; WaveLimiterHint : 0
; COMPUTE_PGM_RSRC2:SCRATCH_EN: 0
; COMPUTE_PGM_RSRC2:USER_SGPR: 13
; COMPUTE_PGM_RSRC2:TRAP_HANDLER: 0
; COMPUTE_PGM_RSRC2:TGID_X_EN: 1
; COMPUTE_PGM_RSRC2:TGID_Y_EN: 1
; COMPUTE_PGM_RSRC2:TGID_Z_EN: 1
; COMPUTE_PGM_RSRC2:TIDIG_COMP_CNT: 2
	.section	.text._ZL39kernel_cg_grid_group_type_via_base_typePiS_S_S_,"axG",@progbits,_ZL39kernel_cg_grid_group_type_via_base_typePiS_S_S_,comdat
	.globl	_ZL39kernel_cg_grid_group_type_via_base_typePiS_S_S_ ; -- Begin function _ZL39kernel_cg_grid_group_type_via_base_typePiS_S_S_
	.p2align	8
	.type	_ZL39kernel_cg_grid_group_type_via_base_typePiS_S_S_,@function
_ZL39kernel_cg_grid_group_type_via_base_typePiS_S_S_: ; @_ZL39kernel_cg_grid_group_type_via_base_typePiS_S_S_
; %bb.0:
	s_clause 0x1
	s_load_b32 s2, s[0:1], 0x30
	s_load_b128 s[16:19], s[0:1], 0x20
	s_add_u32 s3, s0, 32
	s_addc_u32 s4, s1, 0
	v_dual_mov_b32 v1, 0 :: v_dual_and_b32 v2, 0x3ff, v0
	s_waitcnt lgkmcnt(0)
	s_and_b32 s12, s2, 0xffff
	s_lshr_b32 s20, s19, 16
	s_cmp_lt_u32 s13, s16
	s_cselect_b32 s2, 12, 18
	s_delay_alu instid0(SALU_CYCLE_1)
	s_add_u32 s2, s3, s2
	s_addc_u32 s3, s4, 0
	s_load_b256 s[4:11], s[0:1], 0x0
	global_load_u16 v10, v1, s[2:3]
	s_mul_i32 s2, s17, s15
	s_and_b32 s3, s19, 0xffff
	s_add_i32 s2, s2, s14
	v_mad_u64_u32 v[5:6], null, s13, s3, v[2:3]
	v_bfe_u32 v3, v0, 20, 10
	s_mul_i32 s2, s2, s16
	s_delay_alu instid0(SALU_CYCLE_1)
	s_add_i32 s2, s2, s13
	s_delay_alu instid0(VALU_DEP_1) | instid1(SALU_CYCLE_1)
	v_mad_u64_u32 v[7:8], null, s2, s12, v[3:4]
	s_delay_alu instid0(VALU_DEP_3) | instskip(SKIP_2) | instid1(SALU_CYCLE_1)
	v_ashrrev_i32_e32 v6, 31, v5
	v_bfe_u32 v4, v0, 10, 10
	s_mul_i32 s2, s18, s12
	s_mul_i32 s2, s2, s17
	s_delay_alu instid0(VALU_DEP_2) | instskip(NEXT) | instid1(VALU_DEP_2)
	v_lshlrev_b64 v[0:1], 2, v[5:6]
	v_mad_u64_u32 v[5:6], null, v7, s20, v[4:5]
	s_mul_i32 s2, s2, s20
	s_delay_alu instid0(SALU_CYCLE_1) | instskip(SKIP_1) | instid1(VALU_DEP_2)
	s_mul_i32 s2, s2, s16
	s_waitcnt lgkmcnt(0)
	v_add_co_u32 v6, vcc_lo, s4, v0
	v_add_co_ci_u32_e32 v7, vcc_lo, s5, v1, vcc_lo
	s_waitcnt vmcnt(0)
	v_mul_lo_u32 v11, s2, v10
	v_mad_u64_u32 v[8:9], null, v5, v10, v[2:3]
	v_add_co_u32 v9, vcc_lo, s6, v0
	v_add_co_ci_u32_e32 v10, vcc_lo, s7, v1, vcc_lo
	v_or_b32_e32 v5, s13, v2
	global_store_b32 v[6:7], v11, off
	global_store_b32 v[9:10], v8, off
	s_load_b64 s[0:1], s[0:1], 0x78
	v_add_co_u32 v7, vcc_lo, s8, v0
	v_add_co_ci_u32_e32 v8, vcc_lo, s9, v1, vcc_lo
	v_cmp_ne_u32_e32 vcc_lo, 0, v5
	s_waitcnt lgkmcnt(0)
	s_cmp_lg_u64 s[0:1], 0
	s_cselect_b32 s2, -1, 0
	s_getpc_b64 s[4:5]
	s_add_u32 s4, s4, _ZL2gm.0@rel32@lo+4
	s_addc_u32 s5, s5, _ZL2gm.0@rel32@hi+12
	v_cndmask_b32_e64 v9, 0, 1, s2
	v_cmp_eq_u32_e64 s2, 0, v5
	v_dual_mov_b32 v6, s5 :: v_dual_mov_b32 v5, s4
	global_store_b32 v[7:8], v9, off
	s_and_saveexec_b32 s3, vcc_lo
; %bb.1:
	v_cmp_eq_u32_e32 vcc_lo, 0, v2
	s_cmp_eq_u32 s13, 1
	s_cselect_b32 s6, -1, 0
	s_getpc_b64 s[4:5]
	s_add_u32 s4, s4, _ZL2gm.1@rel32@lo+4
	s_addc_u32 s5, s5, _ZL2gm.1@rel32@hi+12
	s_and_b32 s6, s6, vcc_lo
	v_dual_mov_b32 v6, s5 :: v_dual_mov_b32 v5, s4
	s_and_not1_b32 s2, s2, exec_lo
	s_and_b32 s4, s6, exec_lo
	s_delay_alu instid0(SALU_CYCLE_1)
	s_or_b32 s2, s2, s4
; %bb.2:
	s_or_b32 exec_lo, exec_lo, s3
	s_and_saveexec_b32 s3, s2
	s_cbranch_execz .LBB1_4
; %bb.3:
	v_mov_b32_e32 v7, 1
	global_store_b8 v[5:6], v7, off
.LBB1_4:
	s_or_b32 exec_lo, exec_lo, s3
	v_or3_b32 v2, v4, v3, v2
	s_mov_b32 s2, exec_lo
	s_waitcnt_vscnt null, 0x0
	buffer_gl1_inv
	buffer_gl0_inv
	s_barrier
	v_cmpx_eq_u32_e32 0, v2
	s_cbranch_execz .LBB1_14
; %bb.5:
	v_mov_b32_e32 v4, 0
	s_mov_b32 s3, exec_lo
	s_mov_b32 s4, exec_lo
	v_mbcnt_lo_u32_b32 v3, s3, 0
                                        ; implicit-def: $vgpr5
	global_load_b32 v2, v4, s[0:1] offset:40
	v_cmpx_eq_u32_e32 0, v3
	s_cbranch_execz .LBB1_7
; %bb.6:
	s_bcnt1_i32_b32 s3, s3
	s_delay_alu instid0(SALU_CYCLE_1)
	v_mov_b32_e32 v5, s3
	global_atomic_add_u32 v5, v4, v5, s[0:1] offset:32 glc
.LBB1_7:
	s_or_b32 exec_lo, exec_lo, s4
	s_waitcnt vmcnt(0)
	v_readfirstlane_b32 s3, v5
	v_add_nc_u32_e32 v5, -1, v2
	s_delay_alu instid0(VALU_DEP_2) | instskip(SKIP_1) | instid1(VALU_DEP_1)
	v_add_nc_u32_e32 v3, s3, v3
	s_mov_b32 s3, exec_lo
	v_and_b32_e32 v4, 0xffff, v3
	s_delay_alu instid0(VALU_DEP_1)
	v_cmpx_ne_u32_e64 v4, v5
	s_xor_b32 s3, exec_lo, s3
	s_cbranch_execz .LBB1_11
; %bb.8:
	v_mov_b32_e32 v2, 0
	s_mov_b32 s4, 0
.LBB1_9:                                ; =>This Inner Loop Header: Depth=1
	s_sleep 1
	global_load_b32 v4, v2, s[0:1] offset:32 glc
	s_waitcnt vmcnt(0)
	v_xor_b32_e32 v4, v4, v3
	s_delay_alu instid0(VALU_DEP_1) | instskip(SKIP_1) | instid1(SALU_CYCLE_1)
	v_cmp_lt_u32_e32 vcc_lo, 0xffff, v4
	s_or_b32 s4, vcc_lo, s4
	s_and_not1_b32 exec_lo, exec_lo, s4
	s_cbranch_execnz .LBB1_9
; %bb.10:
	s_or_b32 exec_lo, exec_lo, s4
                                        ; implicit-def: $vgpr2
.LBB1_11:
	s_and_not1_saveexec_b32 s3, s3
	s_cbranch_execz .LBB1_14
; %bb.12:
	s_mov_b32 s3, exec_lo
	s_delay_alu instid0(SALU_CYCLE_1) | instskip(NEXT) | instid1(VALU_DEP_1)
	v_mbcnt_lo_u32_b32 v3, s3, 0
	v_cmp_eq_u32_e32 vcc_lo, 0, v3
	s_and_b32 s4, exec_lo, vcc_lo
	s_delay_alu instid0(SALU_CYCLE_1)
	s_mov_b32 exec_lo, s4
	s_cbranch_execz .LBB1_14
; %bb.13:
	v_sub_nc_u32_e32 v2, 0x10000, v2
	s_bcnt1_i32_b32 s3, s3
	v_mov_b32_e32 v3, 0
	s_delay_alu instid0(VALU_DEP_2)
	v_mul_lo_u32 v2, v2, s3
	global_atomic_add_u32 v3, v2, s[0:1] offset:32
.LBB1_14:
	s_or_b32 exec_lo, exec_lo, s2
	v_mov_b32_e32 v2, 0
	s_getpc_b64 s[0:1]
	s_add_u32 s0, s0, _ZL2gm.1@rel32@lo+4
	s_addc_u32 s1, s1, _ZL2gm.1@rel32@hi+12
	s_getpc_b64 s[2:3]
	s_add_u32 s2, s2, _ZL2gm.0@rel32@lo+4
	s_addc_u32 s3, s3, _ZL2gm.0@rel32@hi+12
	s_waitcnt_vscnt null, 0x0
	s_barrier
	s_clause 0x1
	global_load_u8 v3, v2, s[0:1]
	global_load_u8 v2, v2, s[2:3]
	s_waitcnt vmcnt(1)
	v_and_b32_e32 v3, 1, v3
	s_waitcnt vmcnt(0)
	v_and_b32_e32 v2, 1, v2
	s_delay_alu instid0(VALU_DEP_2) | instskip(SKIP_1) | instid1(VALU_DEP_3)
	v_cmp_eq_u32_e32 vcc_lo, 1, v3
	v_cndmask_b32_e64 v3, 0, 20, vcc_lo
	v_cmp_eq_u32_e32 vcc_lo, 1, v2
	v_cndmask_b32_e64 v2, 0, 10, vcc_lo
	v_add_co_u32 v0, vcc_lo, s10, v0
	v_add_co_ci_u32_e32 v1, vcc_lo, s11, v1, vcc_lo
	s_delay_alu instid0(VALU_DEP_3)
	v_mul_lo_u32 v2, v2, v3
	global_store_b32 v[0:1], v2, off
	s_nop 0
	s_sendmsg sendmsg(MSG_DEALLOC_VGPRS)
	s_endpgm
	.section	.rodata,"a",@progbits
	.p2align	6, 0x0
	.amdhsa_kernel _ZL39kernel_cg_grid_group_type_via_base_typePiS_S_S_
		.amdhsa_group_segment_fixed_size 0
		.amdhsa_private_segment_fixed_size 0
		.amdhsa_kernarg_size 288
		.amdhsa_user_sgpr_count 13
		.amdhsa_user_sgpr_dispatch_ptr 0
		.amdhsa_user_sgpr_queue_ptr 0
		.amdhsa_user_sgpr_kernarg_segment_ptr 1
		.amdhsa_user_sgpr_dispatch_id 0
		.amdhsa_user_sgpr_private_segment_size 0
		.amdhsa_wavefront_size32 1
		.amdhsa_uses_dynamic_stack 0
		.amdhsa_enable_private_segment 0
		.amdhsa_system_sgpr_workgroup_id_x 1
		.amdhsa_system_sgpr_workgroup_id_y 1
		.amdhsa_system_sgpr_workgroup_id_z 1
		.amdhsa_system_sgpr_workgroup_info 0
		.amdhsa_system_vgpr_workitem_id 2
		.amdhsa_next_free_vgpr 12
		.amdhsa_next_free_sgpr 21
		.amdhsa_reserve_vcc 1
		.amdhsa_float_round_mode_32 0
		.amdhsa_float_round_mode_16_64 0
		.amdhsa_float_denorm_mode_32 3
		.amdhsa_float_denorm_mode_16_64 3
		.amdhsa_dx10_clamp 1
		.amdhsa_ieee_mode 1
		.amdhsa_fp16_overflow 0
		.amdhsa_workgroup_processor_mode 1
		.amdhsa_memory_ordered 1
		.amdhsa_forward_progress 0
		.amdhsa_shared_vgpr_count 0
		.amdhsa_exception_fp_ieee_invalid_op 0
		.amdhsa_exception_fp_denorm_src 0
		.amdhsa_exception_fp_ieee_div_zero 0
		.amdhsa_exception_fp_ieee_overflow 0
		.amdhsa_exception_fp_ieee_underflow 0
		.amdhsa_exception_fp_ieee_inexact 0
		.amdhsa_exception_int_div_zero 0
	.end_amdhsa_kernel
	.section	.text._ZL39kernel_cg_grid_group_type_via_base_typePiS_S_S_,"axG",@progbits,_ZL39kernel_cg_grid_group_type_via_base_typePiS_S_S_,comdat
.Lfunc_end1:
	.size	_ZL39kernel_cg_grid_group_type_via_base_typePiS_S_S_, .Lfunc_end1-_ZL39kernel_cg_grid_group_type_via_base_typePiS_S_S_
                                        ; -- End function
	.section	.AMDGPU.csdata,"",@progbits
; Kernel info:
; codeLenInByte = 908
; NumSgprs: 23
; NumVgprs: 12
; ScratchSize: 0
; MemoryBound: 0
; FloatMode: 240
; IeeeMode: 1
; LDSByteSize: 0 bytes/workgroup (compile time only)
; SGPRBlocks: 2
; VGPRBlocks: 1
; NumSGPRsForWavesPerEU: 23
; NumVGPRsForWavesPerEU: 12
; Occupancy: 16
; WaveLimiterHint : 0
; COMPUTE_PGM_RSRC2:SCRATCH_EN: 0
; COMPUTE_PGM_RSRC2:USER_SGPR: 13
; COMPUTE_PGM_RSRC2:TRAP_HANDLER: 0
; COMPUTE_PGM_RSRC2:TGID_X_EN: 1
; COMPUTE_PGM_RSRC2:TGID_Y_EN: 1
; COMPUTE_PGM_RSRC2:TGID_Z_EN: 1
; COMPUTE_PGM_RSRC2:TIDIG_COMP_CNT: 2
	.section	.text._ZL40kernel_cg_grid_group_type_via_public_apiPiS_S_S_P4dim3,"axG",@progbits,_ZL40kernel_cg_grid_group_type_via_public_apiPiS_S_S_P4dim3,comdat
	.globl	_ZL40kernel_cg_grid_group_type_via_public_apiPiS_S_S_P4dim3 ; -- Begin function _ZL40kernel_cg_grid_group_type_via_public_apiPiS_S_S_P4dim3
	.p2align	8
	.type	_ZL40kernel_cg_grid_group_type_via_public_apiPiS_S_S_P4dim3,@function
_ZL40kernel_cg_grid_group_type_via_public_apiPiS_S_S_P4dim3: ; @_ZL40kernel_cg_grid_group_type_via_public_apiPiS_S_S_P4dim3
; %bb.0:
	s_clause 0x1
	s_load_b32 s2, s[0:1], 0x38
	s_load_b128 s[16:19], s[0:1], 0x28
	s_add_u32 s3, s0, 40
	s_addc_u32 s4, s1, 0
	v_dual_mov_b32 v1, 0 :: v_dual_and_b32 v4, 0x3ff, v0
	s_waitcnt lgkmcnt(0)
	s_and_b32 s12, s2, 0xffff
	s_lshr_b32 s20, s19, 16
	s_cmp_lt_u32 s13, s16
	s_cselect_b32 s2, 12, 18
	s_delay_alu instid0(SALU_CYCLE_1)
	s_add_u32 s2, s3, s2
	s_addc_u32 s3, s4, 0
	s_load_b256 s[4:11], s[0:1], 0x0
	global_load_u16 v12, v1, s[2:3]
	s_mul_i32 s2, s17, s15
	s_and_b32 s15, s19, 0xffff
	s_add_i32 s2, s2, s14
	v_mad_u64_u32 v[1:2], null, s13, s15, v[4:5]
	v_bfe_u32 v5, v0, 20, 10
	s_mul_i32 s2, s2, s16
	v_bfe_u32 v0, v0, 10, 10
	s_add_i32 s2, s2, s13
	s_delay_alu instid0(VALU_DEP_2) | instid1(SALU_CYCLE_1)
	v_mad_u64_u32 v[6:7], null, s2, s12, v[5:6]
	s_delay_alu instid0(VALU_DEP_4) | instskip(SKIP_1) | instid1(SALU_CYCLE_1)
	v_ashrrev_i32_e32 v2, 31, v1
	s_mul_i32 s2, s18, s12
	s_mul_i32 s2, s2, s17
	s_delay_alu instid0(VALU_DEP_1) | instskip(NEXT) | instid1(VALU_DEP_3)
	v_lshlrev_b64 v[2:3], 2, v[1:2]
	v_mad_u64_u32 v[7:8], null, v6, s20, v[0:1]
	s_mul_i32 s2, s2, s20
	s_delay_alu instid0(SALU_CYCLE_1) | instskip(SKIP_1) | instid1(VALU_DEP_2)
	s_mul_i32 s2, s2, s16
	s_waitcnt lgkmcnt(0)
	v_add_co_u32 v8, vcc_lo, s4, v2
	v_add_co_ci_u32_e32 v9, vcc_lo, s5, v3, vcc_lo
	v_add_co_u32 v6, vcc_lo, s6, v2
	s_waitcnt vmcnt(0)
	v_mul_lo_u32 v13, s2, v12
	v_mad_u64_u32 v[10:11], null, v7, v12, v[4:5]
	v_add_co_ci_u32_e32 v7, vcc_lo, s7, v3, vcc_lo
	global_store_b32 v[8:9], v13, off
	global_store_b32 v[6:7], v10, off
	s_load_b64 s[2:3], s[0:1], 0x80
	v_or_b32_e32 v6, s13, v4
	v_add_co_u32 v8, vcc_lo, s8, v2
	v_add_co_ci_u32_e32 v9, vcc_lo, s9, v3, vcc_lo
	s_delay_alu instid0(VALU_DEP_3)
	v_cmp_ne_u32_e32 vcc_lo, 0, v6
	s_waitcnt lgkmcnt(0)
	s_cmp_lg_u64 s[2:3], 0
	s_cselect_b32 s4, -1, 0
	s_getpc_b64 s[6:7]
	s_add_u32 s6, s6, _ZL2gm.0@rel32@lo+4
	s_addc_u32 s7, s7, _ZL2gm.0@rel32@hi+12
	v_cndmask_b32_e64 v10, 0, 1, s4
	v_cmp_eq_u32_e64 s4, 0, v6
	v_dual_mov_b32 v6, s6 :: v_dual_mov_b32 v7, s7
	global_store_b32 v[8:9], v10, off
	s_and_saveexec_b32 s5, vcc_lo
; %bb.1:
	v_cmp_eq_u32_e32 vcc_lo, 0, v4
	s_cmp_eq_u32 s13, 1
	s_cselect_b32 s8, -1, 0
	s_getpc_b64 s[6:7]
	s_add_u32 s6, s6, _ZL2gm.1@rel32@lo+4
	s_addc_u32 s7, s7, _ZL2gm.1@rel32@hi+12
	s_and_b32 s8, s8, vcc_lo
	v_dual_mov_b32 v6, s6 :: v_dual_mov_b32 v7, s7
	s_and_not1_b32 s4, s4, exec_lo
	s_and_b32 s6, s8, exec_lo
	s_delay_alu instid0(SALU_CYCLE_1)
	s_or_b32 s4, s4, s6
; %bb.2:
	s_or_b32 exec_lo, exec_lo, s5
	s_load_b64 s[0:1], s[0:1], 0x20
	s_and_saveexec_b32 s5, s4
	s_cbranch_execz .LBB2_4
; %bb.3:
	v_mov_b32_e32 v8, 1
	global_store_b8 v[6:7], v8, off
.LBB2_4:
	s_or_b32 exec_lo, exec_lo, s5
	v_or3_b32 v0, v4, v0, v5
	s_mov_b32 s4, exec_lo
	s_waitcnt lgkmcnt(0)
	s_waitcnt_vscnt null, 0x0
	buffer_gl1_inv
	buffer_gl0_inv
	s_barrier
	v_cmpx_eq_u32_e32 0, v0
	s_cbranch_execz .LBB2_14
; %bb.5:
	v_mov_b32_e32 v5, 0
	s_mov_b32 s5, exec_lo
	s_mov_b32 s6, exec_lo
	v_mbcnt_lo_u32_b32 v4, s5, 0
                                        ; implicit-def: $vgpr6
	global_load_b32 v0, v5, s[2:3] offset:40
	v_cmpx_eq_u32_e32 0, v4
	s_cbranch_execz .LBB2_7
; %bb.6:
	s_bcnt1_i32_b32 s5, s5
	s_delay_alu instid0(SALU_CYCLE_1)
	v_mov_b32_e32 v6, s5
	global_atomic_add_u32 v6, v5, v6, s[2:3] offset:32 glc
.LBB2_7:
	s_or_b32 exec_lo, exec_lo, s6
	s_waitcnt vmcnt(0)
	v_readfirstlane_b32 s5, v6
	v_add_nc_u32_e32 v6, -1, v0
	s_delay_alu instid0(VALU_DEP_2) | instskip(SKIP_1) | instid1(VALU_DEP_1)
	v_add_nc_u32_e32 v4, s5, v4
	s_mov_b32 s5, exec_lo
	v_and_b32_e32 v5, 0xffff, v4
	s_delay_alu instid0(VALU_DEP_1)
	v_cmpx_ne_u32_e64 v5, v6
	s_xor_b32 s5, exec_lo, s5
	s_cbranch_execz .LBB2_11
; %bb.8:
	v_mov_b32_e32 v0, 0
	s_mov_b32 s6, 0
.LBB2_9:                                ; =>This Inner Loop Header: Depth=1
	s_sleep 1
	global_load_b32 v5, v0, s[2:3] offset:32 glc
	s_waitcnt vmcnt(0)
	v_xor_b32_e32 v5, v5, v4
	s_delay_alu instid0(VALU_DEP_1) | instskip(SKIP_1) | instid1(SALU_CYCLE_1)
	v_cmp_lt_u32_e32 vcc_lo, 0xffff, v5
	s_or_b32 s6, vcc_lo, s6
	s_and_not1_b32 exec_lo, exec_lo, s6
	s_cbranch_execnz .LBB2_9
; %bb.10:
	s_or_b32 exec_lo, exec_lo, s6
                                        ; implicit-def: $vgpr0
.LBB2_11:
	s_and_not1_saveexec_b32 s5, s5
	s_cbranch_execz .LBB2_14
; %bb.12:
	s_mov_b32 s5, exec_lo
	s_delay_alu instid0(SALU_CYCLE_1) | instskip(NEXT) | instid1(VALU_DEP_1)
	v_mbcnt_lo_u32_b32 v4, s5, 0
	v_cmp_eq_u32_e32 vcc_lo, 0, v4
	s_and_b32 s6, exec_lo, vcc_lo
	s_delay_alu instid0(SALU_CYCLE_1)
	s_mov_b32 exec_lo, s6
	s_cbranch_execz .LBB2_14
; %bb.13:
	v_sub_nc_u32_e32 v0, 0x10000, v0
	s_bcnt1_i32_b32 s5, s5
	v_mov_b32_e32 v4, 0
	s_delay_alu instid0(VALU_DEP_2)
	v_mul_lo_u32 v0, v0, s5
	global_atomic_add_u32 v4, v0, s[2:3] offset:32
.LBB2_14:
	s_or_b32 exec_lo, exec_lo, s4
	v_mov_b32_e32 v0, 0
	s_getpc_b64 s[2:3]
	s_add_u32 s2, s2, _ZL2gm.1@rel32@lo+4
	s_addc_u32 s3, s3, _ZL2gm.1@rel32@hi+12
	s_getpc_b64 s[4:5]
	s_add_u32 s4, s4, _ZL2gm.0@rel32@lo+4
	s_addc_u32 s5, s5, _ZL2gm.0@rel32@hi+12
	s_waitcnt_vscnt null, 0x0
	s_barrier
	s_clause 0x1
	global_load_u8 v4, v0, s[2:3]
	global_load_u8 v0, v0, s[4:5]
	s_waitcnt vmcnt(1)
	v_and_b32_e32 v4, 1, v4
	s_waitcnt vmcnt(0)
	v_and_b32_e32 v0, 1, v0
	s_delay_alu instid0(VALU_DEP_2) | instskip(SKIP_1) | instid1(VALU_DEP_3)
	v_cmp_eq_u32_e32 vcc_lo, 1, v4
	v_cndmask_b32_e64 v6, 0, 20, vcc_lo
	v_cmp_eq_u32_e32 vcc_lo, 1, v0
	v_cndmask_b32_e64 v0, 0, 10, vcc_lo
	v_add_co_u32 v4, vcc_lo, s10, v2
	v_add_co_ci_u32_e32 v5, vcc_lo, s11, v3, vcc_lo
	s_delay_alu instid0(VALU_DEP_3)
	v_mul_lo_u32 v3, v0, v6
	v_mad_i64_i32 v[6:7], null, v1, 12, s[0:1]
	v_dual_mov_b32 v1, s20 :: v_dual_mov_b32 v0, s15
	v_mov_b32_e32 v2, s12
	global_store_b32 v[4:5], v3, off
	global_store_b96 v[6:7], v[0:2], off
	s_nop 0
	s_sendmsg sendmsg(MSG_DEALLOC_VGPRS)
	s_endpgm
	.section	.rodata,"a",@progbits
	.p2align	6, 0x0
	.amdhsa_kernel _ZL40kernel_cg_grid_group_type_via_public_apiPiS_S_S_P4dim3
		.amdhsa_group_segment_fixed_size 0
		.amdhsa_private_segment_fixed_size 0
		.amdhsa_kernarg_size 296
		.amdhsa_user_sgpr_count 13
		.amdhsa_user_sgpr_dispatch_ptr 0
		.amdhsa_user_sgpr_queue_ptr 0
		.amdhsa_user_sgpr_kernarg_segment_ptr 1
		.amdhsa_user_sgpr_dispatch_id 0
		.amdhsa_user_sgpr_private_segment_size 0
		.amdhsa_wavefront_size32 1
		.amdhsa_uses_dynamic_stack 0
		.amdhsa_enable_private_segment 0
		.amdhsa_system_sgpr_workgroup_id_x 1
		.amdhsa_system_sgpr_workgroup_id_y 1
		.amdhsa_system_sgpr_workgroup_id_z 1
		.amdhsa_system_sgpr_workgroup_info 0
		.amdhsa_system_vgpr_workitem_id 2
		.amdhsa_next_free_vgpr 14
		.amdhsa_next_free_sgpr 21
		.amdhsa_reserve_vcc 1
		.amdhsa_float_round_mode_32 0
		.amdhsa_float_round_mode_16_64 0
		.amdhsa_float_denorm_mode_32 3
		.amdhsa_float_denorm_mode_16_64 3
		.amdhsa_dx10_clamp 1
		.amdhsa_ieee_mode 1
		.amdhsa_fp16_overflow 0
		.amdhsa_workgroup_processor_mode 1
		.amdhsa_memory_ordered 1
		.amdhsa_forward_progress 0
		.amdhsa_shared_vgpr_count 0
		.amdhsa_exception_fp_ieee_invalid_op 0
		.amdhsa_exception_fp_denorm_src 0
		.amdhsa_exception_fp_ieee_div_zero 0
		.amdhsa_exception_fp_ieee_overflow 0
		.amdhsa_exception_fp_ieee_underflow 0
		.amdhsa_exception_fp_ieee_inexact 0
		.amdhsa_exception_int_div_zero 0
	.end_amdhsa_kernel
	.section	.text._ZL40kernel_cg_grid_group_type_via_public_apiPiS_S_S_P4dim3,"axG",@progbits,_ZL40kernel_cg_grid_group_type_via_public_apiPiS_S_S_P4dim3,comdat
.Lfunc_end2:
	.size	_ZL40kernel_cg_grid_group_type_via_public_apiPiS_S_S_P4dim3, .Lfunc_end2-_ZL40kernel_cg_grid_group_type_via_public_apiPiS_S_S_P4dim3
                                        ; -- End function
	.section	.AMDGPU.csdata,"",@progbits
; Kernel info:
; codeLenInByte = 948
; NumSgprs: 23
; NumVgprs: 14
; ScratchSize: 0
; MemoryBound: 0
; FloatMode: 240
; IeeeMode: 1
; LDSByteSize: 0 bytes/workgroup (compile time only)
; SGPRBlocks: 2
; VGPRBlocks: 1
; NumSGPRsForWavesPerEU: 23
; NumVGPRsForWavesPerEU: 14
; Occupancy: 16
; WaveLimiterHint : 0
; COMPUTE_PGM_RSRC2:SCRATCH_EN: 0
; COMPUTE_PGM_RSRC2:USER_SGPR: 13
; COMPUTE_PGM_RSRC2:TRAP_HANDLER: 0
; COMPUTE_PGM_RSRC2:TGID_X_EN: 1
; COMPUTE_PGM_RSRC2:TGID_Y_EN: 1
; COMPUTE_PGM_RSRC2:TGID_Z_EN: 1
; COMPUTE_PGM_RSRC2:TIDIG_COMP_CNT: 2
	.section	.text._ZL11coop_kernelPjS_jj,"axG",@progbits,_ZL11coop_kernelPjS_jj,comdat
	.globl	_ZL11coop_kernelPjS_jj          ; -- Begin function _ZL11coop_kernelPjS_jj
	.p2align	8
	.type	_ZL11coop_kernelPjS_jj,@function
_ZL11coop_kernelPjS_jj:                 ; @_ZL11coop_kernelPjS_jj
; %bb.0:
	s_load_b64 s[2:3], s[0:1], 0x10
	s_mov_b32 s12, 0
	s_waitcnt lgkmcnt(0)
	s_cmp_eq_u32 s2, 0
	s_cbranch_scc1 .LBB3_29
; %bb.1:
	v_mov_b32_e32 v1, 0
	s_load_b64 s[10:11], s[0:1], 0x18
	s_add_u32 s8, s0, 24
	s_addc_u32 s9, s1, 0
	v_bfe_u32 v4, v0, 20, 10
	global_load_b32 v5, v1, s[0:1] offset:38
	s_waitcnt lgkmcnt(0)
	s_cmp_lt_u32 s13, s10
	s_cselect_b32 s4, 12, 18
	s_delay_alu instid0(SALU_CYCLE_1)
	s_add_u32 s4, s8, s4
	s_addc_u32 s5, s9, 0
	global_load_u16 v8, v1, s[4:5]
	s_load_b32 s4, s[0:1], 0x20
	s_waitcnt vmcnt(1)
	v_lshrrev_b32_e32 v6, 16, v5
	s_waitcnt lgkmcnt(0)
	s_delay_alu instid0(VALU_DEP_1) | instskip(SKIP_1) | instid1(SALU_CYCLE_1)
	v_mul_lo_u32 v2, s4, v6
	s_mul_i32 s4, s11, s15
	s_add_i32 s4, s4, s14
	s_delay_alu instid0(SALU_CYCLE_1) | instskip(NEXT) | instid1(SALU_CYCLE_1)
	s_mul_i32 s4, s4, s10
	s_add_i32 s4, s4, s13
	s_delay_alu instid0(VALU_DEP_1)
	v_mul_lo_u32 v7, v2, s11
	v_mad_u64_u32 v[2:3], null, s4, v6, v[4:5]
	v_and_b32_e32 v3, 0xffff, v5
	v_bfe_u32 v5, v0, 10, 10
	s_load_b128 s[4:7], s[0:1], 0x0
	v_and_b32_e32 v0, 0x3ff, v0
	s_delay_alu instid0(VALU_DEP_3) | instskip(NEXT) | instid1(VALU_DEP_3)
	v_mul_lo_u32 v9, v7, v3
	v_mad_u64_u32 v[6:7], null, v2, v3, v[5:6]
	s_delay_alu instid0(VALU_DEP_2) | instskip(SKIP_1) | instid1(VALU_DEP_2)
	v_mul_lo_u32 v7, v9, s10
	s_waitcnt vmcnt(0)
	v_mad_u64_u32 v[2:3], null, v6, v8, v[0:1]
	v_or3_b32 v0, v0, v5, v4
	s_delay_alu instid0(VALU_DEP_1) | instskip(NEXT) | instid1(VALU_DEP_4)
	v_cmp_eq_u32_e64 s0, 0, v0
	v_mul_lo_u32 v5, v7, v8
	s_delay_alu instid0(VALU_DEP_4)
	v_cmp_gt_u32_e32 vcc_lo, s3, v2
	v_xad_u32 v6, v2, -1, s3
	s_branch .LBB3_3
.LBB3_2:                                ;   in Loop: Header=BB3_3 Depth=1
	s_or_b32 exec_lo, exec_lo, s13
	s_add_i32 s12, s12, 1
	s_waitcnt_vscnt null, 0x0
	s_barrier
	s_cmp_eq_u32 s12, s2
	s_cbranch_scc1 .LBB3_29
.LBB3_3:                                ; =>This Loop Header: Depth=1
                                        ;     Child Loop BB3_5 Depth 2
                                        ;     Child Loop BB3_11 Depth 2
	;; [unrolled: 1-line block ×4, first 2 shown]
	s_and_saveexec_b32 s10, vcc_lo
	s_cbranch_execz .LBB3_6
; %bb.4:                                ;   in Loop: Header=BB3_3 Depth=1
	v_mov_b32_e32 v3, v2
	s_mov_b32 s11, 0
	.p2align	6
.LBB3_5:                                ;   Parent Loop BB3_3 Depth=1
                                        ; =>  This Inner Loop Header: Depth=2
	s_delay_alu instid0(VALU_DEP_1) | instskip(NEXT) | instid1(VALU_DEP_1)
	v_ashrrev_i32_e32 v4, 31, v3
	v_lshlrev_b64 v[7:8], 2, v[3:4]
	v_add_nc_u32_e32 v3, v3, v5
	s_waitcnt lgkmcnt(0)
	s_delay_alu instid0(VALU_DEP_2) | instskip(NEXT) | instid1(VALU_DEP_1)
	v_add_co_u32 v9, s1, s4, v7
	v_add_co_ci_u32_e64 v10, s1, s5, v8, s1
	v_add_co_u32 v7, s1, s6, v7
	s_delay_alu instid0(VALU_DEP_1)
	v_add_co_ci_u32_e64 v8, s1, s7, v8, s1
	v_cmp_le_u32_e64 s1, s3, v3
	global_load_b32 v0, v[9:10], off
	global_load_b32 v4, v[7:8], off
	s_or_b32 s11, s1, s11
	s_waitcnt vmcnt(0)
	v_add_nc_u32_e32 v0, v4, v0
	global_store_b32 v[7:8], v0, off
	s_and_not1_b32 exec_lo, exec_lo, s11
	s_cbranch_execnz .LBB3_5
.LBB3_6:                                ;   in Loop: Header=BB3_3 Depth=1
	s_or_b32 exec_lo, exec_lo, s10
	s_waitcnt lgkmcnt(0)
	s_waitcnt_vscnt null, 0x0
	buffer_gl1_inv
	buffer_gl0_inv
	s_barrier
	s_and_saveexec_b32 s13, s0
	s_cbranch_execz .LBB3_16
; %bb.7:                                ;   in Loop: Header=BB3_3 Depth=1
	s_load_b64 s[10:11], s[8:9], 0x58
	s_mov_b32 s14, exec_lo
	s_mov_b32 s15, exec_lo
	v_mbcnt_lo_u32_b32 v3, s14, 0
                                        ; implicit-def: $vgpr4
	s_waitcnt lgkmcnt(0)
	global_load_b32 v0, v1, s[10:11] offset:40
	v_cmpx_eq_u32_e32 0, v3
	s_cbranch_execz .LBB3_9
; %bb.8:                                ;   in Loop: Header=BB3_3 Depth=1
	s_bcnt1_i32_b32 s1, s14
	s_delay_alu instid0(SALU_CYCLE_1)
	v_mov_b32_e32 v4, s1
	global_atomic_add_u32 v4, v1, v4, s[10:11] offset:32 glc
.LBB3_9:                                ;   in Loop: Header=BB3_3 Depth=1
	s_or_b32 exec_lo, exec_lo, s15
	s_waitcnt vmcnt(0)
	v_readfirstlane_b32 s1, v4
	v_add_nc_u32_e32 v7, -1, v0
	s_mov_b32 s14, exec_lo
	s_delay_alu instid0(VALU_DEP_2) | instskip(NEXT) | instid1(VALU_DEP_1)
	v_add_nc_u32_e32 v3, s1, v3
	v_and_b32_e32 v4, 0xffff, v3
	s_delay_alu instid0(VALU_DEP_1)
	v_cmpx_ne_u32_e64 v4, v7
	s_xor_b32 s14, exec_lo, s14
	s_cbranch_execz .LBB3_13
; %bb.10:                               ;   in Loop: Header=BB3_3 Depth=1
	s_mov_b32 s15, 0
.LBB3_11:                               ;   Parent Loop BB3_3 Depth=1
                                        ; =>  This Inner Loop Header: Depth=2
	s_sleep 1
	global_load_b32 v0, v1, s[10:11] offset:32 glc
	s_waitcnt vmcnt(0)
	v_xor_b32_e32 v0, v0, v3
	s_delay_alu instid0(VALU_DEP_1) | instskip(NEXT) | instid1(VALU_DEP_1)
	v_cmp_lt_u32_e64 s1, 0xffff, v0
	s_or_b32 s15, s1, s15
	s_delay_alu instid0(SALU_CYCLE_1)
	s_and_not1_b32 exec_lo, exec_lo, s15
	s_cbranch_execnz .LBB3_11
; %bb.12:                               ;   in Loop: Header=BB3_3 Depth=1
	s_or_b32 exec_lo, exec_lo, s15
                                        ; implicit-def: $vgpr0
.LBB3_13:                               ;   in Loop: Header=BB3_3 Depth=1
	s_and_not1_saveexec_b32 s1, s14
	s_cbranch_execz .LBB3_16
; %bb.14:                               ;   in Loop: Header=BB3_3 Depth=1
	s_mov_b32 s14, exec_lo
	s_delay_alu instid0(SALU_CYCLE_1) | instskip(NEXT) | instid1(VALU_DEP_1)
	v_mbcnt_lo_u32_b32 v3, s14, 0
	v_cmp_eq_u32_e64 s1, 0, v3
	s_delay_alu instid0(VALU_DEP_1) | instskip(NEXT) | instid1(SALU_CYCLE_1)
	s_and_b32 s1, exec_lo, s1
	s_mov_b32 exec_lo, s1
	s_cbranch_execz .LBB3_16
; %bb.15:                               ;   in Loop: Header=BB3_3 Depth=1
	v_sub_nc_u32_e32 v0, 0x10000, v0
	s_bcnt1_i32_b32 s1, s14
	s_delay_alu instid0(VALU_DEP_1) | instid1(SALU_CYCLE_1)
	v_mul_lo_u32 v0, v0, s1
	global_atomic_add_u32 v1, v0, s[10:11] offset:32
.LBB3_16:                               ;   in Loop: Header=BB3_3 Depth=1
	s_or_b32 exec_lo, exec_lo, s13
	s_waitcnt_vscnt null, 0x0
	s_barrier
	s_and_saveexec_b32 s10, vcc_lo
	s_cbranch_execz .LBB3_19
; %bb.17:                               ;   in Loop: Header=BB3_3 Depth=1
	v_mov_b32_e32 v0, v6
	v_mov_b32_e32 v3, v2
	s_mov_b32 s11, 0
	.p2align	6
.LBB3_18:                               ;   Parent Loop BB3_3 Depth=1
                                        ; =>  This Inner Loop Header: Depth=2
	s_delay_alu instid0(VALU_DEP_1) | instskip(NEXT) | instid1(VALU_DEP_3)
	v_ashrrev_i32_e32 v4, 31, v3
	v_lshlrev_b64 v[7:8], 2, v[0:1]
	v_sub_nc_u32_e32 v0, v0, v5
	s_delay_alu instid0(VALU_DEP_3) | instskip(SKIP_1) | instid1(VALU_DEP_4)
	v_lshlrev_b64 v[9:10], 2, v[3:4]
	v_add_nc_u32_e32 v3, v3, v5
	v_add_co_u32 v7, s1, s6, v7
	s_delay_alu instid0(VALU_DEP_1) | instskip(NEXT) | instid1(VALU_DEP_4)
	v_add_co_ci_u32_e64 v8, s1, s7, v8, s1
	v_add_co_u32 v9, s1, s4, v9
	s_delay_alu instid0(VALU_DEP_1)
	v_add_co_ci_u32_e64 v10, s1, s5, v10, s1
	v_cmp_le_u32_e64 s1, s3, v3
	global_load_b32 v4, v[7:8], off
	global_load_b32 v7, v[9:10], off
	s_or_b32 s11, s1, s11
	s_waitcnt vmcnt(0)
	v_add_nc_u32_e32 v4, v7, v4
	global_store_b32 v[9:10], v4, off
	s_and_not1_b32 exec_lo, exec_lo, s11
	s_cbranch_execnz .LBB3_18
.LBB3_19:                               ;   in Loop: Header=BB3_3 Depth=1
	s_or_b32 exec_lo, exec_lo, s10
	s_waitcnt_vscnt null, 0x0
	buffer_gl1_inv
	buffer_gl0_inv
	s_barrier
	s_and_saveexec_b32 s13, s0
	s_cbranch_execz .LBB3_2
; %bb.20:                               ;   in Loop: Header=BB3_3 Depth=1
	s_load_b64 s[10:11], s[8:9], 0x58
	s_mov_b32 s14, exec_lo
	s_mov_b32 s15, exec_lo
	v_mbcnt_lo_u32_b32 v3, s14, 0
                                        ; implicit-def: $vgpr4
	s_waitcnt lgkmcnt(0)
	global_load_b32 v0, v1, s[10:11] offset:40
	v_cmpx_eq_u32_e32 0, v3
	s_cbranch_execz .LBB3_22
; %bb.21:                               ;   in Loop: Header=BB3_3 Depth=1
	s_bcnt1_i32_b32 s1, s14
	s_delay_alu instid0(SALU_CYCLE_1)
	v_mov_b32_e32 v4, s1
	global_atomic_add_u32 v4, v1, v4, s[10:11] offset:32 glc
.LBB3_22:                               ;   in Loop: Header=BB3_3 Depth=1
	s_or_b32 exec_lo, exec_lo, s15
	s_waitcnt vmcnt(0)
	v_readfirstlane_b32 s1, v4
	v_add_nc_u32_e32 v7, -1, v0
	s_mov_b32 s14, exec_lo
	s_delay_alu instid0(VALU_DEP_2) | instskip(NEXT) | instid1(VALU_DEP_1)
	v_add_nc_u32_e32 v3, s1, v3
	v_and_b32_e32 v4, 0xffff, v3
	s_delay_alu instid0(VALU_DEP_1)
	v_cmpx_ne_u32_e64 v4, v7
	s_xor_b32 s14, exec_lo, s14
	s_cbranch_execz .LBB3_26
; %bb.23:                               ;   in Loop: Header=BB3_3 Depth=1
	s_mov_b32 s15, 0
.LBB3_24:                               ;   Parent Loop BB3_3 Depth=1
                                        ; =>  This Inner Loop Header: Depth=2
	s_sleep 1
	global_load_b32 v0, v1, s[10:11] offset:32 glc
	s_waitcnt vmcnt(0)
	v_xor_b32_e32 v0, v0, v3
	s_delay_alu instid0(VALU_DEP_1) | instskip(NEXT) | instid1(VALU_DEP_1)
	v_cmp_lt_u32_e64 s1, 0xffff, v0
	s_or_b32 s15, s1, s15
	s_delay_alu instid0(SALU_CYCLE_1)
	s_and_not1_b32 exec_lo, exec_lo, s15
	s_cbranch_execnz .LBB3_24
; %bb.25:                               ;   in Loop: Header=BB3_3 Depth=1
	s_or_b32 exec_lo, exec_lo, s15
                                        ; implicit-def: $vgpr0
.LBB3_26:                               ;   in Loop: Header=BB3_3 Depth=1
	s_and_not1_saveexec_b32 s1, s14
	s_cbranch_execz .LBB3_2
; %bb.27:                               ;   in Loop: Header=BB3_3 Depth=1
	s_mov_b32 s14, exec_lo
	s_delay_alu instid0(SALU_CYCLE_1) | instskip(NEXT) | instid1(VALU_DEP_1)
	v_mbcnt_lo_u32_b32 v3, s14, 0
	v_cmp_eq_u32_e64 s1, 0, v3
	s_delay_alu instid0(VALU_DEP_1) | instskip(NEXT) | instid1(SALU_CYCLE_1)
	s_and_b32 s1, exec_lo, s1
	s_mov_b32 exec_lo, s1
	s_cbranch_execz .LBB3_2
; %bb.28:                               ;   in Loop: Header=BB3_3 Depth=1
	v_sub_nc_u32_e32 v0, 0x10000, v0
	s_bcnt1_i32_b32 s1, s14
	s_delay_alu instid0(VALU_DEP_1) | instid1(SALU_CYCLE_1)
	v_mul_lo_u32 v0, v0, s1
	global_atomic_add_u32 v1, v0, s[10:11] offset:32
	s_branch .LBB3_2
.LBB3_29:
	s_endpgm
	.section	.rodata,"a",@progbits
	.p2align	6, 0x0
	.amdhsa_kernel _ZL11coop_kernelPjS_jj
		.amdhsa_group_segment_fixed_size 0
		.amdhsa_private_segment_fixed_size 0
		.amdhsa_kernarg_size 280
		.amdhsa_user_sgpr_count 13
		.amdhsa_user_sgpr_dispatch_ptr 0
		.amdhsa_user_sgpr_queue_ptr 0
		.amdhsa_user_sgpr_kernarg_segment_ptr 1
		.amdhsa_user_sgpr_dispatch_id 0
		.amdhsa_user_sgpr_private_segment_size 0
		.amdhsa_wavefront_size32 1
		.amdhsa_uses_dynamic_stack 0
		.amdhsa_enable_private_segment 0
		.amdhsa_system_sgpr_workgroup_id_x 1
		.amdhsa_system_sgpr_workgroup_id_y 1
		.amdhsa_system_sgpr_workgroup_id_z 1
		.amdhsa_system_sgpr_workgroup_info 0
		.amdhsa_system_vgpr_workitem_id 2
		.amdhsa_next_free_vgpr 11
		.amdhsa_next_free_sgpr 16
		.amdhsa_reserve_vcc 1
		.amdhsa_float_round_mode_32 0
		.amdhsa_float_round_mode_16_64 0
		.amdhsa_float_denorm_mode_32 3
		.amdhsa_float_denorm_mode_16_64 3
		.amdhsa_dx10_clamp 1
		.amdhsa_ieee_mode 1
		.amdhsa_fp16_overflow 0
		.amdhsa_workgroup_processor_mode 1
		.amdhsa_memory_ordered 1
		.amdhsa_forward_progress 0
		.amdhsa_shared_vgpr_count 0
		.amdhsa_exception_fp_ieee_invalid_op 0
		.amdhsa_exception_fp_denorm_src 0
		.amdhsa_exception_fp_ieee_div_zero 0
		.amdhsa_exception_fp_ieee_overflow 0
		.amdhsa_exception_fp_ieee_underflow 0
		.amdhsa_exception_fp_ieee_inexact 0
		.amdhsa_exception_int_div_zero 0
	.end_amdhsa_kernel
	.section	.text._ZL11coop_kernelPjS_jj,"axG",@progbits,_ZL11coop_kernelPjS_jj,comdat
.Lfunc_end3:
	.size	_ZL11coop_kernelPjS_jj, .Lfunc_end3-_ZL11coop_kernelPjS_jj
                                        ; -- End function
	.section	.AMDGPU.csdata,"",@progbits
; Kernel info:
; codeLenInByte = 1208
; NumSgprs: 18
; NumVgprs: 11
; ScratchSize: 0
; MemoryBound: 0
; FloatMode: 240
; IeeeMode: 1
; LDSByteSize: 0 bytes/workgroup (compile time only)
; SGPRBlocks: 2
; VGPRBlocks: 1
; NumSGPRsForWavesPerEU: 18
; NumVGPRsForWavesPerEU: 11
; Occupancy: 16
; WaveLimiterHint : 0
; COMPUTE_PGM_RSRC2:SCRATCH_EN: 0
; COMPUTE_PGM_RSRC2:USER_SGPR: 13
; COMPUTE_PGM_RSRC2:TRAP_HANDLER: 0
; COMPUTE_PGM_RSRC2:TGID_X_EN: 1
; COMPUTE_PGM_RSRC2:TGID_Y_EN: 1
; COMPUTE_PGM_RSRC2:TGID_Z_EN: 1
; COMPUTE_PGM_RSRC2:TIDIG_COMP_CNT: 2
	.section	.text._ZL11test_kernelPjS_j,"axG",@progbits,_ZL11test_kernelPjS_j,comdat
	.globl	_ZL11test_kernelPjS_j           ; -- Begin function _ZL11test_kernelPjS_j
	.p2align	8
	.type	_ZL11test_kernelPjS_j,@function
_ZL11test_kernelPjS_j:                  ; @_ZL11test_kernelPjS_j
; %bb.0:
	s_load_b32 s3, s[0:1], 0x10
	s_mov_b32 s11, 0
	s_waitcnt lgkmcnt(0)
	s_cmp_eq_u32 s3, 0
	s_cbranch_scc1 .LBB4_18
; %bb.1:
	v_mov_b32_e32 v1, 0
	s_add_u32 s12, s0, 24
	s_mov_b32 s8, s13
	s_addc_u32 s13, s1, 0
	s_mov_b32 s19, 0
	global_load_b32 v2, v1, s[0:1] offset:38
	s_clause 0x1
	s_load_b64 s[4:5], s[0:1], 0x1c
	s_load_b32 s18, s[0:1], 0x18
	s_waitcnt lgkmcnt(0)
	s_mul_i32 s2, s4, s15
	s_delay_alu instid0(SALU_CYCLE_1) | instskip(NEXT) | instid1(SALU_CYCLE_1)
	s_add_i32 s2, s2, s14
	s_mul_i32 s2, s2, s18
	s_delay_alu instid0(SALU_CYCLE_1) | instskip(SKIP_2) | instid1(SALU_CYCLE_1)
	s_add_i32 s2, s2, s8
	s_cmp_lt_u32 s8, s18
	s_cselect_b32 s6, 12, 18
	s_add_u32 s6, s12, s6
	s_addc_u32 s7, s13, 0
	s_waitcnt vmcnt(0)
	v_lshrrev_b32_e32 v5, 16, v2
	v_and_b32_e32 v7, 0xffff, v2
	v_bfe_u32 v2, v0, 20, 10
	s_delay_alu instid0(VALU_DEP_3) | instskip(NEXT) | instid1(VALU_DEP_1)
	v_mul_lo_u32 v3, s5, v5
	v_mul_lo_u32 v3, v3, s4
	s_delay_alu instid0(VALU_DEP_1) | instskip(NEXT) | instid1(VALU_DEP_4)
	v_mul_lo_u32 v6, v3, v7
	v_mad_u64_u32 v[3:4], null, s2, v5, v[2:3]
	v_bfe_u32 v4, v0, 10, 10
	v_and_b32_e32 v0, 0x3ff, v0
	global_load_u16 v8, v1, s[6:7]
	s_load_b128 s[4:7], s[0:1], 0x0
	v_mul_lo_u32 v9, v6, s18
	v_mad_u64_u32 v[5:6], null, v3, v7, v[4:5]
	v_or3_b32 v2, v0, v4, v2
	v_cmp_eq_u32_e64 s0, 0, v0
	s_delay_alu instid0(VALU_DEP_2) | instskip(SKIP_3) | instid1(VALU_DEP_2)
	v_cmp_eq_u32_e64 s1, 0, v2
	s_waitcnt vmcnt(0)
	v_mul_lo_u32 v3, v9, v8
	v_mad_u64_u32 v[6:7], null, v5, v8, v[0:1]
	v_dual_mov_b32 v0, -1 :: v_dual_add_nc_u32 v3, -1, v3
	s_delay_alu instid0(VALU_DEP_1)
	v_cmp_eq_u32_e64 s2, v6, v3
	s_branch .LBB4_3
.LBB4_2:                                ;   in Loop: Header=BB4_3 Depth=1
	s_or_b32 exec_lo, exec_lo, s9
	s_add_i32 s19, s19, 1
	s_add_i32 s8, s8, s18
	s_cmp_eq_u32 s19, s3
	s_waitcnt_vscnt null, 0x0
	s_barrier
	s_cbranch_scc1 .LBB4_18
.LBB4_3:                                ; =>This Loop Header: Depth=1
                                        ;     Child Loop BB4_5 Depth 2
                                        ;     Child Loop BB4_13 Depth 2
	s_delay_alu instid0(VALU_DEP_1)
	s_and_saveexec_b32 s9, s2
	s_cbranch_execz .LBB4_6
; %bb.4:                                ;   in Loop: Header=BB4_3 Depth=1
	s_getreg_b32 s10, hwreg(HW_REG_SHADER_CYCLES, 0, 20)
	s_mov_b64 s[14:15], 0
	s_mov_b64 s[16:17], s[10:11]
.LBB4_5:                                ;   Parent Loop BB4_3 Depth=1
                                        ; =>  This Inner Loop Header: Depth=2
	s_getreg_b32 s10, hwreg(HW_REG_SHADER_CYCLES, 0, 20)
	s_delay_alu instid0(SALU_CYCLE_1) | instskip(SKIP_2) | instid1(VALU_DEP_1)
	v_cmp_gt_i64_e64 s20, s[10:11], s[16:17]
	s_sub_u32 s16, s10, s16
	s_subb_u32 s17, 0, s17
	s_and_b32 s20, s20, exec_lo
	s_cselect_b32 s16, s16, 0
	s_cselect_b32 s17, s17, 0
	s_add_u32 s14, s16, s14
	s_addc_u32 s15, s17, s15
	s_delay_alu instid0(SALU_CYCLE_1) | instskip(NEXT) | instid1(VALU_DEP_1)
	v_cmp_gt_i64_e64 s16, 0xf4240, s[14:15]
	s_and_b32 vcc_lo, exec_lo, s16
	s_mov_b64 s[16:17], s[10:11]
	s_cbranch_vccnz .LBB4_5
.LBB4_6:                                ;   in Loop: Header=BB4_3 Depth=1
	s_or_b32 exec_lo, exec_lo, s9
	s_and_saveexec_b32 s10, s0
	s_cbranch_execz .LBB4_8
; %bb.7:                                ;   in Loop: Header=BB4_3 Depth=1
	s_waitcnt lgkmcnt(0)
	global_atomic_inc_u32 v2, v1, v0, s[4:5] glc
	s_ashr_i32 s9, s8, 31
	s_delay_alu instid0(SALU_CYCLE_1) | instskip(NEXT) | instid1(SALU_CYCLE_1)
	s_lshl_b64 s[14:15], s[8:9], 2
	s_add_u32 s14, s6, s14
	s_addc_u32 s15, s7, s15
	s_waitcnt vmcnt(0)
	global_store_b32 v1, v2, s[14:15]
.LBB4_8:                                ;   in Loop: Header=BB4_3 Depth=1
	s_or_b32 exec_lo, exec_lo, s10
	s_waitcnt lgkmcnt(0)
	s_waitcnt_vscnt null, 0x0
	buffer_gl1_inv
	buffer_gl0_inv
	s_barrier
	s_and_saveexec_b32 s9, s1
	s_cbranch_execz .LBB4_2
; %bb.9:                                ;   in Loop: Header=BB4_3 Depth=1
	s_load_b64 s[14:15], s[12:13], 0x58
	s_mov_b32 s10, exec_lo
	s_mov_b32 s16, exec_lo
	v_mbcnt_lo_u32_b32 v3, s10, 0
                                        ; implicit-def: $vgpr4
	s_waitcnt lgkmcnt(0)
	global_load_b32 v2, v1, s[14:15] offset:40
	v_cmpx_eq_u32_e32 0, v3
	s_cbranch_execz .LBB4_11
; %bb.10:                               ;   in Loop: Header=BB4_3 Depth=1
	s_bcnt1_i32_b32 s10, s10
	s_delay_alu instid0(SALU_CYCLE_1)
	v_mov_b32_e32 v4, s10
	global_atomic_add_u32 v4, v1, v4, s[14:15] offset:32 glc
.LBB4_11:                               ;   in Loop: Header=BB4_3 Depth=1
	s_or_b32 exec_lo, exec_lo, s16
	s_waitcnt vmcnt(0)
	v_readfirstlane_b32 s10, v4
	v_add_nc_u32_e32 v5, -1, v2
	s_delay_alu instid0(VALU_DEP_2) | instskip(SKIP_1) | instid1(VALU_DEP_1)
	v_add_nc_u32_e32 v3, s10, v3
	s_mov_b32 s10, exec_lo
	v_and_b32_e32 v4, 0xffff, v3
	s_delay_alu instid0(VALU_DEP_1)
	v_cmpx_ne_u32_e64 v4, v5
	s_xor_b32 s10, exec_lo, s10
	s_cbranch_execz .LBB4_15
; %bb.12:                               ;   in Loop: Header=BB4_3 Depth=1
	s_mov_b32 s16, 0
.LBB4_13:                               ;   Parent Loop BB4_3 Depth=1
                                        ; =>  This Inner Loop Header: Depth=2
	s_sleep 1
	global_load_b32 v2, v1, s[14:15] offset:32 glc
	s_waitcnt vmcnt(0)
	v_xor_b32_e32 v2, v2, v3
	s_delay_alu instid0(VALU_DEP_1) | instskip(SKIP_1) | instid1(SALU_CYCLE_1)
	v_cmp_lt_u32_e32 vcc_lo, 0xffff, v2
	s_or_b32 s16, vcc_lo, s16
	s_and_not1_b32 exec_lo, exec_lo, s16
	s_cbranch_execnz .LBB4_13
; %bb.14:                               ;   in Loop: Header=BB4_3 Depth=1
	s_or_b32 exec_lo, exec_lo, s16
                                        ; implicit-def: $vgpr2
.LBB4_15:                               ;   in Loop: Header=BB4_3 Depth=1
	s_and_not1_saveexec_b32 s10, s10
	s_cbranch_execz .LBB4_2
; %bb.16:                               ;   in Loop: Header=BB4_3 Depth=1
	s_mov_b32 s10, exec_lo
	s_delay_alu instid0(SALU_CYCLE_1) | instskip(NEXT) | instid1(VALU_DEP_1)
	v_mbcnt_lo_u32_b32 v3, s10, 0
	v_cmp_eq_u32_e32 vcc_lo, 0, v3
	s_and_b32 s16, exec_lo, vcc_lo
	s_delay_alu instid0(SALU_CYCLE_1)
	s_mov_b32 exec_lo, s16
	s_cbranch_execz .LBB4_2
; %bb.17:                               ;   in Loop: Header=BB4_3 Depth=1
	v_sub_nc_u32_e32 v2, 0x10000, v2
	s_bcnt1_i32_b32 s10, s10
	s_delay_alu instid0(VALU_DEP_1) | instid1(SALU_CYCLE_1)
	v_mul_lo_u32 v2, v2, s10
	global_atomic_add_u32 v1, v2, s[14:15] offset:32
	s_branch .LBB4_2
.LBB4_18:
	s_endpgm
	.section	.rodata,"a",@progbits
	.p2align	6, 0x0
	.amdhsa_kernel _ZL11test_kernelPjS_j
		.amdhsa_group_segment_fixed_size 0
		.amdhsa_private_segment_fixed_size 0
		.amdhsa_kernarg_size 280
		.amdhsa_user_sgpr_count 13
		.amdhsa_user_sgpr_dispatch_ptr 0
		.amdhsa_user_sgpr_queue_ptr 0
		.amdhsa_user_sgpr_kernarg_segment_ptr 1
		.amdhsa_user_sgpr_dispatch_id 0
		.amdhsa_user_sgpr_private_segment_size 0
		.amdhsa_wavefront_size32 1
		.amdhsa_uses_dynamic_stack 0
		.amdhsa_enable_private_segment 0
		.amdhsa_system_sgpr_workgroup_id_x 1
		.amdhsa_system_sgpr_workgroup_id_y 1
		.amdhsa_system_sgpr_workgroup_id_z 1
		.amdhsa_system_sgpr_workgroup_info 0
		.amdhsa_system_vgpr_workitem_id 2
		.amdhsa_next_free_vgpr 10
		.amdhsa_next_free_sgpr 21
		.amdhsa_reserve_vcc 1
		.amdhsa_float_round_mode_32 0
		.amdhsa_float_round_mode_16_64 0
		.amdhsa_float_denorm_mode_32 3
		.amdhsa_float_denorm_mode_16_64 3
		.amdhsa_dx10_clamp 1
		.amdhsa_ieee_mode 1
		.amdhsa_fp16_overflow 0
		.amdhsa_workgroup_processor_mode 1
		.amdhsa_memory_ordered 1
		.amdhsa_forward_progress 0
		.amdhsa_shared_vgpr_count 0
		.amdhsa_exception_fp_ieee_invalid_op 0
		.amdhsa_exception_fp_denorm_src 0
		.amdhsa_exception_fp_ieee_div_zero 0
		.amdhsa_exception_fp_ieee_overflow 0
		.amdhsa_exception_fp_ieee_underflow 0
		.amdhsa_exception_fp_ieee_inexact 0
		.amdhsa_exception_int_div_zero 0
	.end_amdhsa_kernel
	.section	.text._ZL11test_kernelPjS_j,"axG",@progbits,_ZL11test_kernelPjS_j,comdat
.Lfunc_end4:
	.size	_ZL11test_kernelPjS_j, .Lfunc_end4-_ZL11test_kernelPjS_j
                                        ; -- End function
	.section	.AMDGPU.csdata,"",@progbits
; Kernel info:
; codeLenInByte = 776
; NumSgprs: 23
; NumVgprs: 10
; ScratchSize: 0
; MemoryBound: 0
; FloatMode: 240
; IeeeMode: 1
; LDSByteSize: 0 bytes/workgroup (compile time only)
; SGPRBlocks: 2
; VGPRBlocks: 1
; NumSGPRsForWavesPerEU: 23
; NumVGPRsForWavesPerEU: 10
; Occupancy: 16
; WaveLimiterHint : 0
; COMPUTE_PGM_RSRC2:SCRATCH_EN: 0
; COMPUTE_PGM_RSRC2:USER_SGPR: 13
; COMPUTE_PGM_RSRC2:TRAP_HANDLER: 0
; COMPUTE_PGM_RSRC2:TGID_X_EN: 1
; COMPUTE_PGM_RSRC2:TGID_Y_EN: 1
; COMPUTE_PGM_RSRC2:TGID_Z_EN: 1
; COMPUTE_PGM_RSRC2:TIDIG_COMP_CNT: 2
	.text
	.protected	_Z17test_kernel_gfx11PjS_j ; -- Begin function _Z17test_kernel_gfx11PjS_j
	.globl	_Z17test_kernel_gfx11PjS_j
	.p2align	8
	.type	_Z17test_kernel_gfx11PjS_j,@function
_Z17test_kernel_gfx11PjS_j:             ; @_Z17test_kernel_gfx11PjS_j
; %bb.0:
	s_load_b32 s3, s[0:1], 0x10
	s_mov_b32 s16, 0
	s_waitcnt lgkmcnt(0)
	s_cmp_eq_u32 s3, 0
	s_cbranch_scc1 .LBB5_18
; %bb.1:
	v_mov_b32_e32 v1, 0
	s_add_u32 s10, s0, 24
	s_addc_u32 s11, s1, 0
	s_mov_b32 s8, s13
	global_load_b32 v2, v1, s[0:1] offset:38
	s_clause 0x1
	s_load_b64 s[4:5], s[0:1], 0x1c
	s_load_b32 s17, s[0:1], 0x18
	s_waitcnt lgkmcnt(0)
	s_mul_i32 s2, s4, s15
	s_delay_alu instid0(SALU_CYCLE_1) | instskip(NEXT) | instid1(SALU_CYCLE_1)
	s_add_i32 s2, s2, s14
	s_mul_i32 s2, s2, s17
	s_delay_alu instid0(SALU_CYCLE_1) | instskip(SKIP_2) | instid1(SALU_CYCLE_1)
	s_add_i32 s2, s2, s13
	s_cmp_lt_u32 s13, s17
	s_cselect_b32 s6, 12, 18
	s_add_u32 s6, s10, s6
	s_addc_u32 s7, s11, 0
	s_waitcnt vmcnt(0)
	v_lshrrev_b32_e32 v5, 16, v2
	v_and_b32_e32 v7, 0xffff, v2
	v_bfe_u32 v2, v0, 20, 10
	s_delay_alu instid0(VALU_DEP_3) | instskip(NEXT) | instid1(VALU_DEP_1)
	v_mul_lo_u32 v3, s5, v5
	v_mul_lo_u32 v3, v3, s4
	s_delay_alu instid0(VALU_DEP_1) | instskip(NEXT) | instid1(VALU_DEP_4)
	v_mul_lo_u32 v6, v3, v7
	v_mad_u64_u32 v[3:4], null, s2, v5, v[2:3]
	v_bfe_u32 v4, v0, 10, 10
	v_and_b32_e32 v0, 0x3ff, v0
	global_load_u16 v8, v1, s[6:7]
	s_load_b128 s[4:7], s[0:1], 0x0
	v_mul_lo_u32 v9, v6, s17
	v_mad_u64_u32 v[5:6], null, v3, v7, v[4:5]
	v_or3_b32 v2, v0, v4, v2
	v_cmp_eq_u32_e64 s0, 0, v0
	s_delay_alu instid0(VALU_DEP_2) | instskip(SKIP_3) | instid1(VALU_DEP_2)
	v_cmp_eq_u32_e64 s1, 0, v2
	s_waitcnt vmcnt(0)
	v_mul_lo_u32 v3, v9, v8
	v_mad_u64_u32 v[6:7], null, v5, v8, v[0:1]
	v_dual_mov_b32 v0, -1 :: v_dual_add_nc_u32 v3, -1, v3
	s_delay_alu instid0(VALU_DEP_1)
	v_cmp_eq_u32_e64 s2, v6, v3
	s_branch .LBB5_3
.LBB5_2:                                ;   in Loop: Header=BB5_3 Depth=1
	s_or_b32 exec_lo, exec_lo, s9
	s_add_i32 s16, s16, 1
	s_add_i32 s8, s8, s17
	s_cmp_eq_u32 s16, s3
	s_waitcnt_vscnt null, 0x0
	s_barrier
	s_cbranch_scc1 .LBB5_18
.LBB5_3:                                ; =>This Loop Header: Depth=1
                                        ;     Child Loop BB5_5 Depth 2
                                        ;     Child Loop BB5_13 Depth 2
	s_delay_alu instid0(VALU_DEP_1)
	s_and_saveexec_b32 s9, s2
	s_cbranch_execz .LBB5_6
; %bb.4:                                ;   in Loop: Header=BB5_3 Depth=1
	s_mov_b64 s[12:13], 0
	s_sendmsg_rtn_b64 s[14:15], sendmsg(MSG_RTN_GET_REALTIME)
.LBB5_5:                                ;   Parent Loop BB5_3 Depth=1
                                        ; =>  This Inner Loop Header: Depth=2
	s_sendmsg_rtn_b64 s[18:19], sendmsg(MSG_RTN_GET_REALTIME)
	s_waitcnt lgkmcnt(0)
	v_cmp_gt_i64_e64 s20, s[18:19], s[14:15]
	s_sub_u32 s14, s18, s14
	s_subb_u32 s15, s19, s15
	s_delay_alu instid0(VALU_DEP_1) | instskip(SKIP_4) | instid1(SALU_CYCLE_1)
	s_and_b32 s20, s20, exec_lo
	s_cselect_b32 s14, s14, 0
	s_cselect_b32 s15, s15, 0
	s_add_u32 s12, s14, s12
	s_addc_u32 s13, s15, s13
	v_cmp_gt_i64_e64 s14, 0xf4240, s[12:13]
	s_delay_alu instid0(VALU_DEP_1)
	s_and_b32 vcc_lo, exec_lo, s14
	s_mov_b64 s[14:15], s[18:19]
	s_cbranch_vccnz .LBB5_5
.LBB5_6:                                ;   in Loop: Header=BB5_3 Depth=1
	s_or_b32 exec_lo, exec_lo, s9
	s_and_saveexec_b32 s12, s0
	s_cbranch_execz .LBB5_8
; %bb.7:                                ;   in Loop: Header=BB5_3 Depth=1
	s_waitcnt lgkmcnt(0)
	global_atomic_inc_u32 v2, v1, v0, s[4:5] glc
	s_ashr_i32 s9, s8, 31
	s_delay_alu instid0(SALU_CYCLE_1) | instskip(NEXT) | instid1(SALU_CYCLE_1)
	s_lshl_b64 s[14:15], s[8:9], 2
	s_add_u32 s14, s6, s14
	s_addc_u32 s15, s7, s15
	s_waitcnt vmcnt(0)
	global_store_b32 v1, v2, s[14:15]
.LBB5_8:                                ;   in Loop: Header=BB5_3 Depth=1
	s_or_b32 exec_lo, exec_lo, s12
	s_waitcnt lgkmcnt(0)
	s_waitcnt_vscnt null, 0x0
	buffer_gl1_inv
	buffer_gl0_inv
	s_barrier
	s_and_saveexec_b32 s9, s1
	s_cbranch_execz .LBB5_2
; %bb.9:                                ;   in Loop: Header=BB5_3 Depth=1
	s_load_b64 s[12:13], s[10:11], 0x58
	s_mov_b32 s14, exec_lo
	s_mov_b32 s15, exec_lo
	v_mbcnt_lo_u32_b32 v3, s14, 0
                                        ; implicit-def: $vgpr4
	s_waitcnt lgkmcnt(0)
	global_load_b32 v2, v1, s[12:13] offset:40
	v_cmpx_eq_u32_e32 0, v3
	s_cbranch_execz .LBB5_11
; %bb.10:                               ;   in Loop: Header=BB5_3 Depth=1
	s_bcnt1_i32_b32 s14, s14
	s_delay_alu instid0(SALU_CYCLE_1)
	v_mov_b32_e32 v4, s14
	global_atomic_add_u32 v4, v1, v4, s[12:13] offset:32 glc
.LBB5_11:                               ;   in Loop: Header=BB5_3 Depth=1
	s_or_b32 exec_lo, exec_lo, s15
	s_waitcnt vmcnt(0)
	v_readfirstlane_b32 s14, v4
	v_add_nc_u32_e32 v5, -1, v2
	s_delay_alu instid0(VALU_DEP_2) | instskip(SKIP_1) | instid1(VALU_DEP_1)
	v_add_nc_u32_e32 v3, s14, v3
	s_mov_b32 s14, exec_lo
	v_and_b32_e32 v4, 0xffff, v3
	s_delay_alu instid0(VALU_DEP_1)
	v_cmpx_ne_u32_e64 v4, v5
	s_xor_b32 s14, exec_lo, s14
	s_cbranch_execz .LBB5_15
; %bb.12:                               ;   in Loop: Header=BB5_3 Depth=1
	s_mov_b32 s15, 0
.LBB5_13:                               ;   Parent Loop BB5_3 Depth=1
                                        ; =>  This Inner Loop Header: Depth=2
	s_sleep 1
	global_load_b32 v2, v1, s[12:13] offset:32 glc
	s_waitcnt vmcnt(0)
	v_xor_b32_e32 v2, v2, v3
	s_delay_alu instid0(VALU_DEP_1) | instskip(SKIP_1) | instid1(SALU_CYCLE_1)
	v_cmp_lt_u32_e32 vcc_lo, 0xffff, v2
	s_or_b32 s15, vcc_lo, s15
	s_and_not1_b32 exec_lo, exec_lo, s15
	s_cbranch_execnz .LBB5_13
; %bb.14:                               ;   in Loop: Header=BB5_3 Depth=1
	s_or_b32 exec_lo, exec_lo, s15
                                        ; implicit-def: $vgpr2
.LBB5_15:                               ;   in Loop: Header=BB5_3 Depth=1
	s_and_not1_saveexec_b32 s14, s14
	s_cbranch_execz .LBB5_2
; %bb.16:                               ;   in Loop: Header=BB5_3 Depth=1
	s_mov_b32 s14, exec_lo
	s_delay_alu instid0(SALU_CYCLE_1) | instskip(NEXT) | instid1(VALU_DEP_1)
	v_mbcnt_lo_u32_b32 v3, s14, 0
	v_cmp_eq_u32_e32 vcc_lo, 0, v3
	s_and_b32 s15, exec_lo, vcc_lo
	s_delay_alu instid0(SALU_CYCLE_1)
	s_mov_b32 exec_lo, s15
	s_cbranch_execz .LBB5_2
; %bb.17:                               ;   in Loop: Header=BB5_3 Depth=1
	v_sub_nc_u32_e32 v2, 0x10000, v2
	s_bcnt1_i32_b32 s14, s14
	s_delay_alu instid0(VALU_DEP_1) | instid1(SALU_CYCLE_1)
	v_mul_lo_u32 v2, v2, s14
	global_atomic_add_u32 v1, v2, s[12:13] offset:32
	s_branch .LBB5_2
.LBB5_18:
	s_endpgm
	.section	.rodata,"a",@progbits
	.p2align	6, 0x0
	.amdhsa_kernel _Z17test_kernel_gfx11PjS_j
		.amdhsa_group_segment_fixed_size 0
		.amdhsa_private_segment_fixed_size 0
		.amdhsa_kernarg_size 280
		.amdhsa_user_sgpr_count 13
		.amdhsa_user_sgpr_dispatch_ptr 0
		.amdhsa_user_sgpr_queue_ptr 0
		.amdhsa_user_sgpr_kernarg_segment_ptr 1
		.amdhsa_user_sgpr_dispatch_id 0
		.amdhsa_user_sgpr_private_segment_size 0
		.amdhsa_wavefront_size32 1
		.amdhsa_uses_dynamic_stack 0
		.amdhsa_enable_private_segment 0
		.amdhsa_system_sgpr_workgroup_id_x 1
		.amdhsa_system_sgpr_workgroup_id_y 1
		.amdhsa_system_sgpr_workgroup_id_z 1
		.amdhsa_system_sgpr_workgroup_info 0
		.amdhsa_system_vgpr_workitem_id 2
		.amdhsa_next_free_vgpr 10
		.amdhsa_next_free_sgpr 21
		.amdhsa_reserve_vcc 1
		.amdhsa_float_round_mode_32 0
		.amdhsa_float_round_mode_16_64 0
		.amdhsa_float_denorm_mode_32 3
		.amdhsa_float_denorm_mode_16_64 3
		.amdhsa_dx10_clamp 1
		.amdhsa_ieee_mode 1
		.amdhsa_fp16_overflow 0
		.amdhsa_workgroup_processor_mode 1
		.amdhsa_memory_ordered 1
		.amdhsa_forward_progress 0
		.amdhsa_shared_vgpr_count 0
		.amdhsa_exception_fp_ieee_invalid_op 0
		.amdhsa_exception_fp_denorm_src 0
		.amdhsa_exception_fp_ieee_div_zero 0
		.amdhsa_exception_fp_ieee_overflow 0
		.amdhsa_exception_fp_ieee_underflow 0
		.amdhsa_exception_fp_ieee_inexact 0
		.amdhsa_exception_int_div_zero 0
	.end_amdhsa_kernel
	.text
.Lfunc_end5:
	.size	_Z17test_kernel_gfx11PjS_j, .Lfunc_end5-_Z17test_kernel_gfx11PjS_j
                                        ; -- End function
	.section	.AMDGPU.csdata,"",@progbits
; Kernel info:
; codeLenInByte = 772
; NumSgprs: 23
; NumVgprs: 10
; ScratchSize: 0
; MemoryBound: 0
; FloatMode: 240
; IeeeMode: 1
; LDSByteSize: 0 bytes/workgroup (compile time only)
; SGPRBlocks: 2
; VGPRBlocks: 1
; NumSGPRsForWavesPerEU: 23
; NumVGPRsForWavesPerEU: 10
; Occupancy: 16
; WaveLimiterHint : 0
; COMPUTE_PGM_RSRC2:SCRATCH_EN: 0
; COMPUTE_PGM_RSRC2:USER_SGPR: 13
; COMPUTE_PGM_RSRC2:TRAP_HANDLER: 0
; COMPUTE_PGM_RSRC2:TGID_X_EN: 1
; COMPUTE_PGM_RSRC2:TGID_Y_EN: 1
; COMPUTE_PGM_RSRC2:TGID_Z_EN: 1
; COMPUTE_PGM_RSRC2:TIDIG_COMP_CNT: 2
	.text
	.p2alignl 7, 3214868480
	.fill 96, 4, 3214868480
	.type	_ZL2gm.0,@object                ; @_ZL2gm.0
	.local	_ZL2gm.0
	.comm	_ZL2gm.0,1,2
	.type	_ZL2gm.1,@object                ; @_ZL2gm.1
	.local	_ZL2gm.1
	.comm	_ZL2gm.1,1,2
	.type	__hip_cuid_c8ef52a83f906e5a,@object ; @__hip_cuid_c8ef52a83f906e5a
	.section	.bss,"aw",@nobits
	.globl	__hip_cuid_c8ef52a83f906e5a
__hip_cuid_c8ef52a83f906e5a:
	.byte	0                               ; 0x0
	.size	__hip_cuid_c8ef52a83f906e5a, 1

	.ident	"AMD clang version 19.0.0git (https://github.com/RadeonOpenCompute/llvm-project roc-6.4.0 25133 c7fe45cf4b819c5991fe208aaa96edf142730f1d)"
	.section	".note.GNU-stack","",@progbits
	.addrsig
	.addrsig_sym __hip_cuid_c8ef52a83f906e5a
	.amdgpu_metadata
---
amdhsa.kernels:
  - .args:
      - .address_space:  global
        .offset:         0
        .size:           8
        .value_kind:     global_buffer
      - .address_space:  global
        .offset:         8
        .size:           8
        .value_kind:     global_buffer
      - .address_space:  global
        .offset:         16
        .size:           8
        .value_kind:     global_buffer
      - .address_space:  global
        .offset:         24
        .size:           8
        .value_kind:     global_buffer
      - .address_space:  global
        .offset:         32
        .size:           8
        .value_kind:     global_buffer
      - .offset:         40
        .size:           4
        .value_kind:     hidden_block_count_x
      - .offset:         44
        .size:           4
        .value_kind:     hidden_block_count_y
      - .offset:         48
        .size:           4
        .value_kind:     hidden_block_count_z
      - .offset:         52
        .size:           2
        .value_kind:     hidden_group_size_x
      - .offset:         54
        .size:           2
        .value_kind:     hidden_group_size_y
      - .offset:         56
        .size:           2
        .value_kind:     hidden_group_size_z
      - .offset:         58
        .size:           2
        .value_kind:     hidden_remainder_x
      - .offset:         60
        .size:           2
        .value_kind:     hidden_remainder_y
      - .offset:         62
        .size:           2
        .value_kind:     hidden_remainder_z
      - .offset:         80
        .size:           8
        .value_kind:     hidden_global_offset_x
      - .offset:         88
        .size:           8
        .value_kind:     hidden_global_offset_y
      - .offset:         96
        .size:           8
        .value_kind:     hidden_global_offset_z
      - .offset:         104
        .size:           2
        .value_kind:     hidden_grid_dims
      - .offset:         128
        .size:           8
        .value_kind:     hidden_multigrid_sync_arg
    .group_segment_fixed_size: 0
    .kernarg_segment_align: 8
    .kernarg_segment_size: 296
    .language:       OpenCL C
    .language_version:
      - 2
      - 0
    .max_flat_workgroup_size: 1024
    .name:           _ZL25kernel_cg_grid_group_typePiS_S_S_P4dim3
    .private_segment_fixed_size: 0
    .sgpr_count:     23
    .sgpr_spill_count: 0
    .symbol:         _ZL25kernel_cg_grid_group_typePiS_S_S_P4dim3.kd
    .uniform_work_group_size: 1
    .uses_dynamic_stack: false
    .vgpr_count:     14
    .vgpr_spill_count: 0
    .wavefront_size: 32
    .workgroup_processor_mode: 1
  - .args:
      - .address_space:  global
        .offset:         0
        .size:           8
        .value_kind:     global_buffer
      - .address_space:  global
        .offset:         8
        .size:           8
        .value_kind:     global_buffer
      - .address_space:  global
        .offset:         16
        .size:           8
        .value_kind:     global_buffer
      - .address_space:  global
        .offset:         24
        .size:           8
        .value_kind:     global_buffer
      - .offset:         32
        .size:           4
        .value_kind:     hidden_block_count_x
      - .offset:         36
        .size:           4
        .value_kind:     hidden_block_count_y
      - .offset:         40
        .size:           4
        .value_kind:     hidden_block_count_z
      - .offset:         44
        .size:           2
        .value_kind:     hidden_group_size_x
      - .offset:         46
        .size:           2
        .value_kind:     hidden_group_size_y
      - .offset:         48
        .size:           2
        .value_kind:     hidden_group_size_z
      - .offset:         50
        .size:           2
        .value_kind:     hidden_remainder_x
      - .offset:         52
        .size:           2
        .value_kind:     hidden_remainder_y
      - .offset:         54
        .size:           2
        .value_kind:     hidden_remainder_z
      - .offset:         72
        .size:           8
        .value_kind:     hidden_global_offset_x
      - .offset:         80
        .size:           8
        .value_kind:     hidden_global_offset_y
      - .offset:         88
        .size:           8
        .value_kind:     hidden_global_offset_z
      - .offset:         96
        .size:           2
        .value_kind:     hidden_grid_dims
      - .offset:         120
        .size:           8
        .value_kind:     hidden_multigrid_sync_arg
    .group_segment_fixed_size: 0
    .kernarg_segment_align: 8
    .kernarg_segment_size: 288
    .language:       OpenCL C
    .language_version:
      - 2
      - 0
    .max_flat_workgroup_size: 1024
    .name:           _ZL39kernel_cg_grid_group_type_via_base_typePiS_S_S_
    .private_segment_fixed_size: 0
    .sgpr_count:     23
    .sgpr_spill_count: 0
    .symbol:         _ZL39kernel_cg_grid_group_type_via_base_typePiS_S_S_.kd
    .uniform_work_group_size: 1
    .uses_dynamic_stack: false
    .vgpr_count:     12
    .vgpr_spill_count: 0
    .wavefront_size: 32
    .workgroup_processor_mode: 1
  - .args:
      - .address_space:  global
        .offset:         0
        .size:           8
        .value_kind:     global_buffer
      - .address_space:  global
        .offset:         8
        .size:           8
        .value_kind:     global_buffer
      - .address_space:  global
        .offset:         16
        .size:           8
        .value_kind:     global_buffer
      - .address_space:  global
        .offset:         24
        .size:           8
        .value_kind:     global_buffer
      - .address_space:  global
        .offset:         32
        .size:           8
        .value_kind:     global_buffer
      - .offset:         40
        .size:           4
        .value_kind:     hidden_block_count_x
      - .offset:         44
        .size:           4
        .value_kind:     hidden_block_count_y
      - .offset:         48
        .size:           4
        .value_kind:     hidden_block_count_z
      - .offset:         52
        .size:           2
        .value_kind:     hidden_group_size_x
      - .offset:         54
        .size:           2
        .value_kind:     hidden_group_size_y
      - .offset:         56
        .size:           2
        .value_kind:     hidden_group_size_z
      - .offset:         58
        .size:           2
        .value_kind:     hidden_remainder_x
      - .offset:         60
        .size:           2
        .value_kind:     hidden_remainder_y
      - .offset:         62
        .size:           2
        .value_kind:     hidden_remainder_z
      - .offset:         80
        .size:           8
        .value_kind:     hidden_global_offset_x
      - .offset:         88
        .size:           8
        .value_kind:     hidden_global_offset_y
      - .offset:         96
        .size:           8
        .value_kind:     hidden_global_offset_z
      - .offset:         104
        .size:           2
        .value_kind:     hidden_grid_dims
      - .offset:         128
        .size:           8
        .value_kind:     hidden_multigrid_sync_arg
    .group_segment_fixed_size: 0
    .kernarg_segment_align: 8
    .kernarg_segment_size: 296
    .language:       OpenCL C
    .language_version:
      - 2
      - 0
    .max_flat_workgroup_size: 1024
    .name:           _ZL40kernel_cg_grid_group_type_via_public_apiPiS_S_S_P4dim3
    .private_segment_fixed_size: 0
    .sgpr_count:     23
    .sgpr_spill_count: 0
    .symbol:         _ZL40kernel_cg_grid_group_type_via_public_apiPiS_S_S_P4dim3.kd
    .uniform_work_group_size: 1
    .uses_dynamic_stack: false
    .vgpr_count:     14
    .vgpr_spill_count: 0
    .wavefront_size: 32
    .workgroup_processor_mode: 1
  - .args:
      - .address_space:  global
        .offset:         0
        .size:           8
        .value_kind:     global_buffer
      - .address_space:  global
        .offset:         8
        .size:           8
        .value_kind:     global_buffer
      - .offset:         16
        .size:           4
        .value_kind:     by_value
      - .offset:         20
        .size:           4
        .value_kind:     by_value
      - .offset:         24
        .size:           4
        .value_kind:     hidden_block_count_x
      - .offset:         28
        .size:           4
        .value_kind:     hidden_block_count_y
      - .offset:         32
        .size:           4
        .value_kind:     hidden_block_count_z
      - .offset:         36
        .size:           2
        .value_kind:     hidden_group_size_x
      - .offset:         38
        .size:           2
        .value_kind:     hidden_group_size_y
      - .offset:         40
        .size:           2
        .value_kind:     hidden_group_size_z
      - .offset:         42
        .size:           2
        .value_kind:     hidden_remainder_x
      - .offset:         44
        .size:           2
        .value_kind:     hidden_remainder_y
      - .offset:         46
        .size:           2
        .value_kind:     hidden_remainder_z
      - .offset:         64
        .size:           8
        .value_kind:     hidden_global_offset_x
      - .offset:         72
        .size:           8
        .value_kind:     hidden_global_offset_y
      - .offset:         80
        .size:           8
        .value_kind:     hidden_global_offset_z
      - .offset:         88
        .size:           2
        .value_kind:     hidden_grid_dims
      - .offset:         112
        .size:           8
        .value_kind:     hidden_multigrid_sync_arg
    .group_segment_fixed_size: 0
    .kernarg_segment_align: 8
    .kernarg_segment_size: 280
    .language:       OpenCL C
    .language_version:
      - 2
      - 0
    .max_flat_workgroup_size: 1024
    .name:           _ZL11coop_kernelPjS_jj
    .private_segment_fixed_size: 0
    .sgpr_count:     18
    .sgpr_spill_count: 0
    .symbol:         _ZL11coop_kernelPjS_jj.kd
    .uniform_work_group_size: 1
    .uses_dynamic_stack: false
    .vgpr_count:     11
    .vgpr_spill_count: 0
    .wavefront_size: 32
    .workgroup_processor_mode: 1
  - .args:
      - .address_space:  global
        .offset:         0
        .size:           8
        .value_kind:     global_buffer
      - .address_space:  global
        .offset:         8
        .size:           8
        .value_kind:     global_buffer
      - .offset:         16
        .size:           4
        .value_kind:     by_value
      - .offset:         24
        .size:           4
        .value_kind:     hidden_block_count_x
      - .offset:         28
        .size:           4
        .value_kind:     hidden_block_count_y
      - .offset:         32
        .size:           4
        .value_kind:     hidden_block_count_z
      - .offset:         36
        .size:           2
        .value_kind:     hidden_group_size_x
      - .offset:         38
        .size:           2
        .value_kind:     hidden_group_size_y
      - .offset:         40
        .size:           2
        .value_kind:     hidden_group_size_z
      - .offset:         42
        .size:           2
        .value_kind:     hidden_remainder_x
      - .offset:         44
        .size:           2
        .value_kind:     hidden_remainder_y
      - .offset:         46
        .size:           2
        .value_kind:     hidden_remainder_z
      - .offset:         64
        .size:           8
        .value_kind:     hidden_global_offset_x
      - .offset:         72
        .size:           8
        .value_kind:     hidden_global_offset_y
      - .offset:         80
        .size:           8
        .value_kind:     hidden_global_offset_z
      - .offset:         88
        .size:           2
        .value_kind:     hidden_grid_dims
      - .offset:         112
        .size:           8
        .value_kind:     hidden_multigrid_sync_arg
    .group_segment_fixed_size: 0
    .kernarg_segment_align: 8
    .kernarg_segment_size: 280
    .language:       OpenCL C
    .language_version:
      - 2
      - 0
    .max_flat_workgroup_size: 1024
    .name:           _ZL11test_kernelPjS_j
    .private_segment_fixed_size: 0
    .sgpr_count:     23
    .sgpr_spill_count: 0
    .symbol:         _ZL11test_kernelPjS_j.kd
    .uniform_work_group_size: 1
    .uses_dynamic_stack: false
    .vgpr_count:     10
    .vgpr_spill_count: 0
    .wavefront_size: 32
    .workgroup_processor_mode: 1
  - .args:
      - .address_space:  global
        .offset:         0
        .size:           8
        .value_kind:     global_buffer
      - .address_space:  global
        .offset:         8
        .size:           8
        .value_kind:     global_buffer
      - .offset:         16
        .size:           4
        .value_kind:     by_value
      - .offset:         24
        .size:           4
        .value_kind:     hidden_block_count_x
      - .offset:         28
        .size:           4
        .value_kind:     hidden_block_count_y
      - .offset:         32
        .size:           4
        .value_kind:     hidden_block_count_z
      - .offset:         36
        .size:           2
        .value_kind:     hidden_group_size_x
      - .offset:         38
        .size:           2
        .value_kind:     hidden_group_size_y
      - .offset:         40
        .size:           2
        .value_kind:     hidden_group_size_z
      - .offset:         42
        .size:           2
        .value_kind:     hidden_remainder_x
      - .offset:         44
        .size:           2
        .value_kind:     hidden_remainder_y
      - .offset:         46
        .size:           2
        .value_kind:     hidden_remainder_z
      - .offset:         64
        .size:           8
        .value_kind:     hidden_global_offset_x
      - .offset:         72
        .size:           8
        .value_kind:     hidden_global_offset_y
      - .offset:         80
        .size:           8
        .value_kind:     hidden_global_offset_z
      - .offset:         88
        .size:           2
        .value_kind:     hidden_grid_dims
      - .offset:         112
        .size:           8
        .value_kind:     hidden_multigrid_sync_arg
    .group_segment_fixed_size: 0
    .kernarg_segment_align: 8
    .kernarg_segment_size: 280
    .language:       OpenCL C
    .language_version:
      - 2
      - 0
    .max_flat_workgroup_size: 1024
    .name:           _Z17test_kernel_gfx11PjS_j
    .private_segment_fixed_size: 0
    .sgpr_count:     23
    .sgpr_spill_count: 0
    .symbol:         _Z17test_kernel_gfx11PjS_j.kd
    .uniform_work_group_size: 1
    .uses_dynamic_stack: false
    .vgpr_count:     10
    .vgpr_spill_count: 0
    .wavefront_size: 32
    .workgroup_processor_mode: 1
amdhsa.target:   amdgcn-amd-amdhsa--gfx1100
amdhsa.version:
  - 1
  - 2
...

	.end_amdgpu_metadata
